;; amdgpu-corpus repo=ROCm/rocFFT kind=compiled arch=gfx1201 opt=O3
	.text
	.amdgcn_target "amdgcn-amd-amdhsa--gfx1201"
	.amdhsa_code_object_version 6
	.protected	fft_rtc_back_len1440_factors_10_16_3_3_wgs_90_tpt_90_halfLds_dp_op_CI_CI_unitstride_sbrr_R2C_dirReg ; -- Begin function fft_rtc_back_len1440_factors_10_16_3_3_wgs_90_tpt_90_halfLds_dp_op_CI_CI_unitstride_sbrr_R2C_dirReg
	.globl	fft_rtc_back_len1440_factors_10_16_3_3_wgs_90_tpt_90_halfLds_dp_op_CI_CI_unitstride_sbrr_R2C_dirReg
	.p2align	8
	.type	fft_rtc_back_len1440_factors_10_16_3_3_wgs_90_tpt_90_halfLds_dp_op_CI_CI_unitstride_sbrr_R2C_dirReg,@function
fft_rtc_back_len1440_factors_10_16_3_3_wgs_90_tpt_90_halfLds_dp_op_CI_CI_unitstride_sbrr_R2C_dirReg: ; @fft_rtc_back_len1440_factors_10_16_3_3_wgs_90_tpt_90_halfLds_dp_op_CI_CI_unitstride_sbrr_R2C_dirReg
; %bb.0:
	s_clause 0x2
	s_load_b128 s[8:11], s[0:1], 0x0
	s_load_b128 s[4:7], s[0:1], 0x58
	;; [unrolled: 1-line block ×3, first 2 shown]
	v_mul_u32_u24_e32 v1, 0x2d9, v0
	v_mov_b32_e32 v3, 0
	s_delay_alu instid0(VALU_DEP_2) | instskip(NEXT) | instid1(VALU_DEP_1)
	v_lshrrev_b32_e32 v1, 16, v1
	v_add_nc_u32_e32 v5, ttmp9, v1
	v_mov_b32_e32 v1, 0
	v_mov_b32_e32 v2, 0
	;; [unrolled: 1-line block ×3, first 2 shown]
	s_wait_kmcnt 0x0
	v_cmp_lt_u64_e64 s2, s[10:11], 2
	s_delay_alu instid0(VALU_DEP_1)
	s_and_b32 vcc_lo, exec_lo, s2
	s_cbranch_vccnz .LBB0_8
; %bb.1:
	s_load_b64 s[2:3], s[0:1], 0x10
	v_mov_b32_e32 v1, 0
	v_mov_b32_e32 v2, 0
	s_add_nc_u64 s[16:17], s[14:15], 8
	s_add_nc_u64 s[18:19], s[12:13], 8
	s_mov_b64 s[20:21], 1
	s_delay_alu instid0(VALU_DEP_1)
	v_dual_mov_b32 v73, v2 :: v_dual_mov_b32 v72, v1
	s_wait_kmcnt 0x0
	s_add_nc_u64 s[22:23], s[2:3], 8
	s_mov_b32 s3, 0
.LBB0_2:                                ; =>This Inner Loop Header: Depth=1
	s_load_b64 s[24:25], s[22:23], 0x0
                                        ; implicit-def: $vgpr78_vgpr79
	s_mov_b32 s2, exec_lo
	s_wait_kmcnt 0x0
	v_or_b32_e32 v4, s25, v6
	s_delay_alu instid0(VALU_DEP_1)
	v_cmpx_ne_u64_e32 0, v[3:4]
	s_wait_alu 0xfffe
	s_xor_b32 s26, exec_lo, s2
	s_cbranch_execz .LBB0_4
; %bb.3:                                ;   in Loop: Header=BB0_2 Depth=1
	s_cvt_f32_u32 s2, s24
	s_cvt_f32_u32 s27, s25
	s_sub_nc_u64 s[30:31], 0, s[24:25]
	s_wait_alu 0xfffe
	s_delay_alu instid0(SALU_CYCLE_1) | instskip(SKIP_1) | instid1(SALU_CYCLE_2)
	s_fmamk_f32 s2, s27, 0x4f800000, s2
	s_wait_alu 0xfffe
	v_s_rcp_f32 s2, s2
	s_delay_alu instid0(TRANS32_DEP_1) | instskip(SKIP_1) | instid1(SALU_CYCLE_2)
	s_mul_f32 s2, s2, 0x5f7ffffc
	s_wait_alu 0xfffe
	s_mul_f32 s27, s2, 0x2f800000
	s_wait_alu 0xfffe
	s_delay_alu instid0(SALU_CYCLE_2) | instskip(SKIP_1) | instid1(SALU_CYCLE_2)
	s_trunc_f32 s27, s27
	s_wait_alu 0xfffe
	s_fmamk_f32 s2, s27, 0xcf800000, s2
	s_cvt_u32_f32 s29, s27
	s_wait_alu 0xfffe
	s_delay_alu instid0(SALU_CYCLE_1) | instskip(SKIP_1) | instid1(SALU_CYCLE_2)
	s_cvt_u32_f32 s28, s2
	s_wait_alu 0xfffe
	s_mul_u64 s[34:35], s[30:31], s[28:29]
	s_wait_alu 0xfffe
	s_mul_hi_u32 s37, s28, s35
	s_mul_i32 s36, s28, s35
	s_mul_hi_u32 s2, s28, s34
	s_mul_i32 s33, s29, s34
	s_wait_alu 0xfffe
	s_add_nc_u64 s[36:37], s[2:3], s[36:37]
	s_mul_hi_u32 s27, s29, s34
	s_mul_hi_u32 s38, s29, s35
	s_add_co_u32 s2, s36, s33
	s_wait_alu 0xfffe
	s_add_co_ci_u32 s2, s37, s27
	s_mul_i32 s34, s29, s35
	s_add_co_ci_u32 s35, s38, 0
	s_wait_alu 0xfffe
	s_add_nc_u64 s[34:35], s[2:3], s[34:35]
	s_wait_alu 0xfffe
	v_add_co_u32 v4, s2, s28, s34
	s_delay_alu instid0(VALU_DEP_1) | instskip(SKIP_1) | instid1(VALU_DEP_1)
	s_cmp_lg_u32 s2, 0
	s_add_co_ci_u32 s29, s29, s35
	v_readfirstlane_b32 s28, v4
	s_wait_alu 0xfffe
	s_delay_alu instid0(VALU_DEP_1)
	s_mul_u64 s[30:31], s[30:31], s[28:29]
	s_wait_alu 0xfffe
	s_mul_hi_u32 s35, s28, s31
	s_mul_i32 s34, s28, s31
	s_mul_hi_u32 s2, s28, s30
	s_mul_i32 s33, s29, s30
	s_wait_alu 0xfffe
	s_add_nc_u64 s[34:35], s[2:3], s[34:35]
	s_mul_hi_u32 s27, s29, s30
	s_mul_hi_u32 s28, s29, s31
	s_wait_alu 0xfffe
	s_add_co_u32 s2, s34, s33
	s_add_co_ci_u32 s2, s35, s27
	s_mul_i32 s30, s29, s31
	s_add_co_ci_u32 s31, s28, 0
	s_wait_alu 0xfffe
	s_add_nc_u64 s[30:31], s[2:3], s[30:31]
	s_wait_alu 0xfffe
	v_add_co_u32 v4, s2, v4, s30
	s_delay_alu instid0(VALU_DEP_1) | instskip(SKIP_1) | instid1(VALU_DEP_1)
	s_cmp_lg_u32 s2, 0
	s_add_co_ci_u32 s2, s29, s31
	v_mul_hi_u32 v13, v5, v4
	s_wait_alu 0xfffe
	v_mad_co_u64_u32 v[7:8], null, v5, s2, 0
	v_mad_co_u64_u32 v[9:10], null, v6, v4, 0
	;; [unrolled: 1-line block ×3, first 2 shown]
	s_delay_alu instid0(VALU_DEP_3) | instskip(SKIP_1) | instid1(VALU_DEP_4)
	v_add_co_u32 v4, vcc_lo, v13, v7
	s_wait_alu 0xfffd
	v_add_co_ci_u32_e32 v7, vcc_lo, 0, v8, vcc_lo
	s_delay_alu instid0(VALU_DEP_2) | instskip(SKIP_1) | instid1(VALU_DEP_2)
	v_add_co_u32 v4, vcc_lo, v4, v9
	s_wait_alu 0xfffd
	v_add_co_ci_u32_e32 v4, vcc_lo, v7, v10, vcc_lo
	s_wait_alu 0xfffd
	v_add_co_ci_u32_e32 v7, vcc_lo, 0, v12, vcc_lo
	s_delay_alu instid0(VALU_DEP_2) | instskip(SKIP_1) | instid1(VALU_DEP_2)
	v_add_co_u32 v4, vcc_lo, v4, v11
	s_wait_alu 0xfffd
	v_add_co_ci_u32_e32 v9, vcc_lo, 0, v7, vcc_lo
	s_delay_alu instid0(VALU_DEP_2) | instskip(SKIP_1) | instid1(VALU_DEP_3)
	v_mul_lo_u32 v10, s25, v4
	v_mad_co_u64_u32 v[7:8], null, s24, v4, 0
	v_mul_lo_u32 v11, s24, v9
	s_delay_alu instid0(VALU_DEP_2) | instskip(NEXT) | instid1(VALU_DEP_2)
	v_sub_co_u32 v7, vcc_lo, v5, v7
	v_add3_u32 v8, v8, v11, v10
	s_delay_alu instid0(VALU_DEP_1) | instskip(SKIP_1) | instid1(VALU_DEP_1)
	v_sub_nc_u32_e32 v10, v6, v8
	s_wait_alu 0xfffd
	v_subrev_co_ci_u32_e64 v10, s2, s25, v10, vcc_lo
	v_add_co_u32 v11, s2, v4, 2
	s_wait_alu 0xf1ff
	v_add_co_ci_u32_e64 v12, s2, 0, v9, s2
	v_sub_co_u32 v13, s2, v7, s24
	v_sub_co_ci_u32_e32 v8, vcc_lo, v6, v8, vcc_lo
	s_wait_alu 0xf1ff
	v_subrev_co_ci_u32_e64 v10, s2, 0, v10, s2
	s_delay_alu instid0(VALU_DEP_3) | instskip(NEXT) | instid1(VALU_DEP_3)
	v_cmp_le_u32_e32 vcc_lo, s24, v13
	v_cmp_eq_u32_e64 s2, s25, v8
	s_wait_alu 0xfffd
	v_cndmask_b32_e64 v13, 0, -1, vcc_lo
	v_cmp_le_u32_e32 vcc_lo, s25, v10
	s_wait_alu 0xfffd
	v_cndmask_b32_e64 v14, 0, -1, vcc_lo
	v_cmp_le_u32_e32 vcc_lo, s24, v7
	;; [unrolled: 3-line block ×3, first 2 shown]
	s_wait_alu 0xfffd
	v_cndmask_b32_e64 v15, 0, -1, vcc_lo
	v_cmp_eq_u32_e32 vcc_lo, s25, v10
	s_wait_alu 0xf1ff
	s_delay_alu instid0(VALU_DEP_2)
	v_cndmask_b32_e64 v7, v15, v7, s2
	s_wait_alu 0xfffd
	v_cndmask_b32_e32 v10, v14, v13, vcc_lo
	v_add_co_u32 v13, vcc_lo, v4, 1
	s_wait_alu 0xfffd
	v_add_co_ci_u32_e32 v14, vcc_lo, 0, v9, vcc_lo
	s_delay_alu instid0(VALU_DEP_3) | instskip(SKIP_1) | instid1(VALU_DEP_2)
	v_cmp_ne_u32_e32 vcc_lo, 0, v10
	s_wait_alu 0xfffd
	v_cndmask_b32_e32 v8, v14, v12, vcc_lo
	v_cndmask_b32_e32 v10, v13, v11, vcc_lo
	v_cmp_ne_u32_e32 vcc_lo, 0, v7
	s_wait_alu 0xfffd
	s_delay_alu instid0(VALU_DEP_2)
	v_dual_cndmask_b32 v79, v9, v8 :: v_dual_cndmask_b32 v78, v4, v10
.LBB0_4:                                ;   in Loop: Header=BB0_2 Depth=1
	s_wait_alu 0xfffe
	s_and_not1_saveexec_b32 s2, s26
	s_cbranch_execz .LBB0_6
; %bb.5:                                ;   in Loop: Header=BB0_2 Depth=1
	v_cvt_f32_u32_e32 v4, s24
	s_sub_co_i32 s26, 0, s24
	v_mov_b32_e32 v79, v3
	s_delay_alu instid0(VALU_DEP_2) | instskip(NEXT) | instid1(TRANS32_DEP_1)
	v_rcp_iflag_f32_e32 v4, v4
	v_mul_f32_e32 v4, 0x4f7ffffe, v4
	s_delay_alu instid0(VALU_DEP_1) | instskip(SKIP_1) | instid1(VALU_DEP_1)
	v_cvt_u32_f32_e32 v4, v4
	s_wait_alu 0xfffe
	v_mul_lo_u32 v7, s26, v4
	s_delay_alu instid0(VALU_DEP_1) | instskip(NEXT) | instid1(VALU_DEP_1)
	v_mul_hi_u32 v7, v4, v7
	v_add_nc_u32_e32 v4, v4, v7
	s_delay_alu instid0(VALU_DEP_1) | instskip(NEXT) | instid1(VALU_DEP_1)
	v_mul_hi_u32 v4, v5, v4
	v_mul_lo_u32 v7, v4, s24
	v_add_nc_u32_e32 v8, 1, v4
	s_delay_alu instid0(VALU_DEP_2) | instskip(NEXT) | instid1(VALU_DEP_1)
	v_sub_nc_u32_e32 v7, v5, v7
	v_subrev_nc_u32_e32 v9, s24, v7
	v_cmp_le_u32_e32 vcc_lo, s24, v7
	s_wait_alu 0xfffd
	s_delay_alu instid0(VALU_DEP_2) | instskip(NEXT) | instid1(VALU_DEP_1)
	v_dual_cndmask_b32 v7, v7, v9 :: v_dual_cndmask_b32 v4, v4, v8
	v_cmp_le_u32_e32 vcc_lo, s24, v7
	s_delay_alu instid0(VALU_DEP_2) | instskip(SKIP_1) | instid1(VALU_DEP_1)
	v_add_nc_u32_e32 v8, 1, v4
	s_wait_alu 0xfffd
	v_cndmask_b32_e32 v78, v4, v8, vcc_lo
.LBB0_6:                                ;   in Loop: Header=BB0_2 Depth=1
	s_wait_alu 0xfffe
	s_or_b32 exec_lo, exec_lo, s2
	v_mul_lo_u32 v4, v79, s24
	s_delay_alu instid0(VALU_DEP_2)
	v_mul_lo_u32 v9, v78, s25
	s_load_b64 s[26:27], s[18:19], 0x0
	v_mad_co_u64_u32 v[7:8], null, v78, s24, 0
	s_load_b64 s[24:25], s[16:17], 0x0
	s_add_nc_u64 s[20:21], s[20:21], 1
	s_add_nc_u64 s[16:17], s[16:17], 8
	s_wait_alu 0xfffe
	v_cmp_ge_u64_e64 s2, s[20:21], s[10:11]
	s_add_nc_u64 s[18:19], s[18:19], 8
	s_add_nc_u64 s[22:23], s[22:23], 8
	v_add3_u32 v4, v8, v9, v4
	v_sub_co_u32 v5, vcc_lo, v5, v7
	s_wait_alu 0xfffd
	s_delay_alu instid0(VALU_DEP_2) | instskip(SKIP_2) | instid1(VALU_DEP_1)
	v_sub_co_ci_u32_e32 v4, vcc_lo, v6, v4, vcc_lo
	s_and_b32 vcc_lo, exec_lo, s2
	s_wait_kmcnt 0x0
	v_mul_lo_u32 v6, s26, v4
	v_mul_lo_u32 v7, s27, v5
	v_mad_co_u64_u32 v[1:2], null, s26, v5, v[1:2]
	v_mul_lo_u32 v4, s24, v4
	v_mul_lo_u32 v8, s25, v5
	v_mad_co_u64_u32 v[72:73], null, s24, v5, v[72:73]
	s_delay_alu instid0(VALU_DEP_4) | instskip(NEXT) | instid1(VALU_DEP_2)
	v_add3_u32 v2, v7, v2, v6
	v_add3_u32 v73, v8, v73, v4
	s_wait_alu 0xfffe
	s_cbranch_vccnz .LBB0_9
; %bb.7:                                ;   in Loop: Header=BB0_2 Depth=1
	v_dual_mov_b32 v5, v78 :: v_dual_mov_b32 v6, v79
	s_branch .LBB0_2
.LBB0_8:
	v_dual_mov_b32 v73, v2 :: v_dual_mov_b32 v72, v1
	v_dual_mov_b32 v79, v6 :: v_dual_mov_b32 v78, v5
.LBB0_9:
	s_load_b64 s[0:1], s[0:1], 0x28
	v_mul_hi_u32 v3, 0x2d82d83, v0
	s_lshl_b64 s[10:11], s[10:11], 3
                                        ; implicit-def: $vgpr74
                                        ; implicit-def: $vgpr76
	s_wait_kmcnt 0x0
	v_cmp_gt_u64_e32 vcc_lo, s[0:1], v[78:79]
	v_cmp_le_u64_e64 s0, s[0:1], v[78:79]
	s_delay_alu instid0(VALU_DEP_1)
	s_and_saveexec_b32 s1, s0
	s_wait_alu 0xfffe
	s_xor_b32 s0, exec_lo, s1
; %bb.10:
	v_mul_u32_u24_e32 v1, 0x5a, v3
                                        ; implicit-def: $vgpr3
	s_delay_alu instid0(VALU_DEP_1) | instskip(NEXT) | instid1(VALU_DEP_1)
	v_sub_nc_u32_e32 v74, v0, v1
                                        ; implicit-def: $vgpr0
                                        ; implicit-def: $vgpr1_vgpr2
	v_add_nc_u32_e32 v76, 0x5a, v74
; %bb.11:
	s_wait_alu 0xfffe
	s_or_saveexec_b32 s1, s0
	s_add_nc_u64 s[2:3], s[14:15], s[10:11]
	s_wait_alu 0xfffe
	s_xor_b32 exec_lo, exec_lo, s1
	s_cbranch_execz .LBB0_13
; %bb.12:
	s_add_nc_u64 s[10:11], s[12:13], s[10:11]
	v_lshlrev_b64_e32 v[1:2], 4, v[1:2]
	s_load_b64 s[10:11], s[10:11], 0x0
	s_wait_kmcnt 0x0
	v_mul_lo_u32 v6, s11, v78
	v_mul_lo_u32 v7, s10, v79
	v_mad_co_u64_u32 v[4:5], null, s10, v78, 0
	s_delay_alu instid0(VALU_DEP_1) | instskip(SKIP_1) | instid1(VALU_DEP_2)
	v_add3_u32 v5, v5, v7, v6
	v_mul_u32_u24_e32 v6, 0x5a, v3
	v_lshlrev_b64_e32 v[3:4], 4, v[4:5]
	s_delay_alu instid0(VALU_DEP_2) | instskip(NEXT) | instid1(VALU_DEP_1)
	v_sub_nc_u32_e32 v74, v0, v6
	v_lshlrev_b32_e32 v64, 4, v74
	s_delay_alu instid0(VALU_DEP_3) | instskip(SKIP_1) | instid1(VALU_DEP_4)
	v_add_co_u32 v0, s0, s4, v3
	s_wait_alu 0xf1ff
	v_add_co_ci_u32_e64 v3, s0, s5, v4, s0
	v_add_nc_u32_e32 v76, 0x5a, v74
	s_delay_alu instid0(VALU_DEP_3) | instskip(SKIP_1) | instid1(VALU_DEP_3)
	v_add_co_u32 v0, s0, v0, v1
	s_wait_alu 0xf1ff
	v_add_co_ci_u32_e64 v1, s0, v3, v2, s0
	s_delay_alu instid0(VALU_DEP_2) | instskip(SKIP_1) | instid1(VALU_DEP_2)
	v_add_co_u32 v60, s0, v0, v64
	s_wait_alu 0xf1ff
	v_add_co_ci_u32_e64 v61, s0, 0, v1, s0
	s_clause 0xf
	global_load_b128 v[0:3], v[60:61], off
	global_load_b128 v[4:7], v[60:61], off offset:1440
	global_load_b128 v[8:11], v[60:61], off offset:2880
	;; [unrolled: 1-line block ×15, first 2 shown]
	v_add_nc_u32_e32 v64, 0, v64
	s_wait_loadcnt 0xf
	ds_store_b128 v64, v[0:3]
	s_wait_loadcnt 0xe
	ds_store_b128 v64, v[4:7] offset:1440
	s_wait_loadcnt 0xd
	ds_store_b128 v64, v[8:11] offset:2880
	;; [unrolled: 2-line block ×15, first 2 shown]
.LBB0_13:
	s_or_b32 exec_lo, exec_lo, s1
	v_lshl_add_u32 v120, v74, 4, 0
	s_load_b64 s[2:3], s[2:3], 0x0
	global_wb scope:SCOPE_SE
	s_wait_dscnt 0x0
	s_wait_kmcnt 0x0
	s_barrier_signal -1
	s_barrier_wait -1
	global_inv scope:SCOPE_SE
	ds_load_b128 v[4:7], v120 offset:16128
	ds_load_b128 v[24:27], v120 offset:11520
	ds_load_b128 v[0:3], v120 offset:20736
	ds_load_b128 v[32:35], v120 offset:6912
	ds_load_b128 v[16:19], v120 offset:12960
	ds_load_b128 v[12:15], v120 offset:17568
	ds_load_b128 v[20:23], v120 offset:8352
	ds_load_b128 v[8:11], v120 offset:22176
	ds_load_b128 v[56:59], v120 offset:2304
	ds_load_b128 v[28:31], v120 offset:3744
	ds_load_b128 v[60:63], v120 offset:4608
	ds_load_b128 v[64:67], v120 offset:9216
	ds_load_b128 v[68:71], v120 offset:13824
	ds_load_b128 v[80:83], v120
	ds_load_b128 v[84:87], v120 offset:18432
	s_mov_b32 s0, 0x134454ff
	s_mov_b32 s1, 0xbfee6f0e
	;; [unrolled: 1-line block ×3, first 2 shown]
	s_wait_alu 0xfffe
	s_mov_b32 s4, s0
	s_mov_b32 s18, 0x4755a5e
	;; [unrolled: 1-line block ×9, first 2 shown]
	s_wait_dscnt 0xd
	v_add_f64_e32 v[36:37], v[26:27], v[6:7]
	v_add_f64_e32 v[38:39], v[24:25], v[4:5]
	s_wait_dscnt 0xb
	v_add_f64_e32 v[40:41], v[34:35], v[2:3]
	v_add_f64_e64 v[88:89], v[34:35], -v[2:3]
	v_add_f64_e64 v[90:91], v[32:33], -v[0:1]
	v_add_f64_e32 v[96:97], v[32:33], v[0:1]
	v_add_f64_e64 v[98:99], v[24:25], -v[4:5]
	s_wait_dscnt 0x6
	v_add_f64_e32 v[102:103], v[56:57], v[32:33]
	s_wait_dscnt 0x1
	v_add_f64_e32 v[104:105], v[80:81], v[60:61]
	v_add_f64_e32 v[106:107], v[82:83], v[62:63]
	;; [unrolled: 1-line block ×3, first 2 shown]
	s_wait_dscnt 0x0
	v_add_f64_e32 v[110:111], v[60:61], v[84:85]
	v_add_f64_e64 v[112:113], v[32:33], -v[24:25]
	v_add_f64_e64 v[114:115], v[0:1], -v[4:5]
	v_add_f64_e32 v[116:117], v[66:67], v[70:71]
	v_add_f64_e64 v[118:119], v[26:27], -v[6:7]
	v_add_f64_e64 v[121:122], v[34:35], -v[26:27]
	;; [unrolled: 1-line block ×3, first 2 shown]
	v_add_f64_e32 v[129:130], v[62:63], v[86:87]
	v_add_f64_e64 v[131:132], v[6:7], -v[2:3]
	v_add_f64_e64 v[133:134], v[62:63], -v[86:87]
	;; [unrolled: 1-line block ×7, first 2 shown]
	v_add_f64_e32 v[143:144], v[18:19], v[14:15]
	v_add_f64_e64 v[145:146], v[60:61], -v[84:85]
	v_add_f64_e64 v[149:150], v[68:69], -v[84:85]
	;; [unrolled: 1-line block ×3, first 2 shown]
	s_mov_b32 s15, 0xbfd3c6ef
	s_mov_b32 s17, 0xbfe9e377
	;; [unrolled: 1-line block ×3, first 2 shown]
	s_wait_alu 0xfffe
	s_mov_b32 s16, s20
	v_add_f64_e64 v[153:154], v[12:13], -v[8:9]
	v_mad_u32_u24 v75, 0x90, v74, v120
	v_fma_f64 v[92:93], v[36:37], -0.5, v[58:59]
	v_fma_f64 v[94:95], v[38:39], -0.5, v[56:57]
	v_fma_f64 v[100:101], v[40:41], -0.5, v[58:59]
	v_add_f64_e32 v[58:59], v[58:59], v[34:35]
	v_add_f64_e64 v[34:35], v[26:27], -v[34:35]
	v_fma_f64 v[56:57], v[96:97], -0.5, v[56:57]
	ds_load_b128 v[48:51], v120 offset:1440
	ds_load_b128 v[52:55], v120 offset:6048
	;; [unrolled: 1-line block ×5, first 2 shown]
	v_add_f64_e32 v[102:103], v[102:103], v[24:25]
	v_add_f64_e32 v[24:25], v[16:17], v[12:13]
	;; [unrolled: 1-line block ×4, first 2 shown]
	v_fma_f64 v[108:109], v[108:109], -0.5, v[80:81]
	v_fma_f64 v[80:81], v[110:111], -0.5, v[80:81]
	v_add_f64_e32 v[112:113], v[112:113], v[114:115]
	v_add_f64_e64 v[114:115], v[64:65], -v[68:69]
	v_fma_f64 v[116:117], v[116:117], -0.5, v[82:83]
	global_wb scope:SCOPE_SE
	s_wait_dscnt 0x0
	v_add_f64_e32 v[110:111], v[121:122], v[123:124]
	v_fma_f64 v[82:83], v[129:130], -0.5, v[82:83]
	v_add_f64_e64 v[129:130], v[62:63], -v[66:67]
	v_add_f64_e64 v[62:63], v[66:67], -v[62:63]
	s_barrier_signal -1
	s_barrier_wait -1
	v_add_f64_e32 v[32:33], v[32:33], v[137:138]
	global_inv scope:SCOPE_SE
	v_add_f64_e32 v[137:138], v[139:140], v[141:142]
	v_add_f64_e32 v[167:168], v[44:45], v[40:41]
	v_add_f64_e32 v[169:170], v[52:53], v[36:37]
	v_add_f64_e32 v[171:172], v[46:47], v[42:43]
	v_add_f64_e32 v[173:174], v[54:55], v[38:39]
	v_add_f64_e64 v[155:156], v[52:53], -v[44:45]
	v_add_f64_e64 v[157:158], v[36:37], -v[40:41]
	;; [unrolled: 1-line block ×6, first 2 shown]
	v_fma_f64 v[125:126], v[90:91], s[4:5], v[92:93]
	v_fma_f64 v[127:128], v[88:89], s[0:1], v[94:95]
	;; [unrolled: 1-line block ×5, first 2 shown]
	v_add_f64_e32 v[26:27], v[58:59], v[26:27]
	v_add_f64_e32 v[66:67], v[34:35], v[131:132]
	v_fma_f64 v[131:132], v[118:119], s[4:5], v[56:57]
	v_fma_f64 v[147:148], v[118:119], s[0:1], v[56:57]
	;; [unrolled: 1-line block ×3, first 2 shown]
	v_add_f64_e64 v[34:35], v[22:23], -v[10:11]
	v_add_f64_e64 v[56:57], v[20:21], -v[8:9]
	v_fma_f64 v[58:59], v[143:144], -0.5, v[30:31]
	v_fma_f64 v[24:25], v[24:25], -0.5, v[28:29]
	v_add_f64_e32 v[68:69], v[104:105], v[68:69]
	v_add_f64_e32 v[4:5], v[102:103], v[4:5]
	v_fma_f64 v[102:103], v[133:134], s[0:1], v[108:109]
	v_fma_f64 v[104:105], v[133:134], s[4:5], v[108:109]
	;; [unrolled: 1-line block ×6, first 2 shown]
	v_add_f64_e64 v[143:144], v[18:19], -v[22:23]
	v_add_f64_e64 v[80:81], v[18:19], -v[14:15]
	v_fma_f64 v[121:122], v[98:99], s[10:11], v[125:126]
	v_fma_f64 v[123:124], v[118:119], s[18:19], v[127:128]
	v_add_f64_e32 v[125:126], v[22:23], v[10:11]
	v_add_f64_e64 v[127:128], v[64:65], -v[60:61]
	v_fma_f64 v[96:97], v[90:91], s[10:11], v[96:97]
	v_fma_f64 v[90:91], v[90:91], s[18:19], v[100:101]
	v_add_f64_e64 v[100:101], v[86:87], -v[70:71]
	v_fma_f64 v[92:93], v[98:99], s[18:19], v[92:93]
	v_add_f64_e32 v[98:99], v[20:21], v[8:9]
	v_add_f64_e64 v[60:61], v[16:17], -v[12:13]
	v_add_f64_e32 v[70:71], v[106:107], v[70:71]
	v_fma_f64 v[106:107], v[145:146], s[4:5], v[116:117]
	v_add_f64_e32 v[6:7], v[26:27], v[6:7]
	v_fma_f64 v[116:117], v[145:146], s[0:1], v[116:117]
	v_fma_f64 v[94:95], v[118:119], s[10:11], v[94:95]
	v_add_f64_e64 v[118:119], v[22:23], -v[18:19]
	v_fma_f64 v[102:103], v[135:136], s[18:19], v[102:103]
	v_fma_f64 v[104:105], v[135:136], s[10:11], v[104:105]
	;; [unrolled: 1-line block ×6, first 2 shown]
	v_add_f64_e32 v[84:85], v[68:69], v[84:85]
	v_add_f64_e32 v[4:5], v[4:5], v[0:1]
	v_fma_f64 v[121:122], v[110:111], s[12:13], v[121:122]
	v_fma_f64 v[123:124], v[112:113], s[12:13], v[123:124]
	v_fma_f64 v[64:65], v[125:126], -0.5, v[30:31]
	v_fma_f64 v[125:126], v[88:89], s[18:19], v[131:132]
	v_fma_f64 v[96:97], v[66:67], s[12:13], v[96:97]
	;; [unrolled: 1-line block ×3, first 2 shown]
	v_add_f64_e64 v[131:132], v[20:21], -v[16:17]
	v_fma_f64 v[66:67], v[66:67], s[12:13], v[90:91]
	v_add_f64_e64 v[90:91], v[8:9], -v[12:13]
	v_fma_f64 v[92:93], v[110:111], s[12:13], v[92:93]
	v_add_f64_e64 v[110:111], v[10:11], -v[14:15]
	v_add_f64_e32 v[100:101], v[129:130], v[100:101]
	v_add_f64_e64 v[129:130], v[14:15], -v[10:11]
	v_fma_f64 v[26:27], v[98:99], -0.5, v[28:29]
	v_add_f64_e32 v[70:71], v[70:71], v[86:87]
	v_fma_f64 v[86:87], v[56:57], s[4:5], v[58:59]
	v_fma_f64 v[98:99], v[34:35], s[0:1], v[24:25]
	;; [unrolled: 1-line block ×3, first 2 shown]
	v_add_f64_e32 v[127:128], v[127:128], v[149:150]
	v_add_f64_e32 v[147:148], v[62:63], v[151:152]
	v_fma_f64 v[114:115], v[114:115], s[18:19], v[116:117]
	v_fma_f64 v[94:95], v[112:113], s[12:13], v[94:95]
	v_add_f64_e32 v[6:7], v[6:7], v[2:3]
	v_add_f64_e64 v[151:152], v[16:17], -v[20:21]
	v_add_f64_e32 v[0:1], v[84:85], v[4:5]
	v_mul_f64_e32 v[135:136], s[18:19], v[121:122]
	v_mul_f64_e32 v[139:140], s[10:11], v[123:124]
	v_fma_f64 v[145:146], v[60:61], s[0:1], v[64:65]
	v_fma_f64 v[116:117], v[32:33], s[12:13], v[125:126]
	v_mul_f64_e32 v[125:126], s[0:1], v[96:97]
	v_mul_f64_e32 v[96:97], s[12:13], v[96:97]
	v_fma_f64 v[88:89], v[32:33], s[12:13], v[88:89]
	v_mul_f64_e32 v[149:150], s[0:1], v[66:67]
	v_mul_f64_e32 v[66:67], s[14:15], v[66:67]
	;; [unrolled: 1-line block ×4, first 2 shown]
	v_add_f64_e32 v[32:33], v[131:132], v[90:91]
	v_add_f64_e32 v[68:69], v[118:119], v[110:111]
	;; [unrolled: 1-line block ×3, first 2 shown]
	v_fma_f64 v[90:91], v[137:138], s[12:13], v[102:103]
	v_fma_f64 v[86:87], v[60:61], s[10:11], v[86:87]
	;; [unrolled: 1-line block ×8, first 2 shown]
	v_add_f64_e32 v[2:3], v[70:71], v[6:7]
	v_add_f64_e64 v[114:115], v[46:47], -v[42:43]
	v_fma_f64 v[106:107], v[123:124], s[20:21], v[135:136]
	v_fma_f64 v[110:111], v[121:122], s[20:21], v[139:140]
	;; [unrolled: 1-line block ×12, first 2 shown]
	v_add_f64_e32 v[92:93], v[151:152], v[153:154]
	v_add_f64_e64 v[121:122], v[84:85], -v[4:5]
	v_add_f64_e64 v[123:124], v[70:71], -v[6:7]
	v_fma_f64 v[70:71], v[68:69], s[12:13], v[86:87]
	v_fma_f64 v[84:85], v[32:33], s[12:13], v[98:99]
	v_add_f64_e64 v[112:113], v[54:55], -v[38:39]
	v_fma_f64 v[86:87], v[34:35], s[18:19], v[118:119]
	v_add_f64_e64 v[118:119], v[44:45], -v[40:41]
	v_add_f64_e32 v[98:99], v[159:160], v[161:162]
	v_add_f64_e32 v[4:5], v[90:91], v[106:107]
	v_add_f64_e32 v[6:7], v[102:103], v[110:111]
	v_fma_f64 v[153:154], v[62:63], s[12:13], v[129:130]
	v_add_f64_e64 v[127:128], v[102:103], -v[110:111]
	v_add_f64_e32 v[129:130], v[108:109], v[139:140]
	v_add_f64_e64 v[133:134], v[108:109], -v[139:140]
	ds_store_b128 v75, v[0:3]
	v_add_f64_e32 v[137:138], v[116:117], v[141:142]
	v_add_f64_e32 v[139:140], v[82:83], v[66:67]
	v_add_f64_e64 v[141:142], v[116:117], -v[141:142]
	v_add_f64_e64 v[143:144], v[82:83], -v[66:67]
	v_add_f64_e32 v[145:146], v[88:89], v[104:105]
	v_add_f64_e64 v[149:150], v[88:89], -v[104:105]
	v_add_f64_e64 v[66:67], v[46:47], -v[54:55]
	;; [unrolled: 1-line block ×4, first 2 shown]
	v_fma_f64 v[104:105], v[167:168], -0.5, v[48:49]
	v_fma_f64 v[102:103], v[169:170], -0.5, v[48:49]
	;; [unrolled: 1-line block ×3, first 2 shown]
	v_mul_f64_e32 v[0:1], s[18:19], v[70:71]
	v_mul_f64_e32 v[2:3], s[10:11], v[84:85]
	v_fma_f64 v[108:109], v[173:174], -0.5, v[50:51]
	v_add_f64_e64 v[125:126], v[90:91], -v[106:107]
	v_add_f64_e32 v[131:132], v[135:136], v[96:97]
	v_add_f64_e64 v[135:136], v[135:136], -v[96:97]
	v_add_f64_e32 v[147:148], v[100:101], v[94:95]
	;; [unrolled: 2-line block ×3, first 2 shown]
	v_add_f64_e32 v[100:101], v[163:164], v[165:166]
	ds_store_b128 v75, v[4:7] offset:16
	v_fma_f64 v[4:5], v[92:93], s[12:13], v[86:87]
	v_mul_f64_e32 v[6:7], s[0:1], v[153:154]
	v_mul_f64_e32 v[88:89], s[12:13], v[153:154]
	ds_store_b128 v75, v[137:140] offset:48
	v_add_f64_e32 v[106:107], v[66:67], v[82:83]
	v_fma_f64 v[82:83], v[112:113], s[0:1], v[104:105]
	v_fma_f64 v[66:67], v[84:85], s[20:21], v[0:1]
	;; [unrolled: 1-line block ×5, first 2 shown]
	ds_store_b128 v75, v[129:132] offset:32
	ds_store_b128 v75, v[121:124] offset:80
	;; [unrolled: 1-line block ×7, first 2 shown]
	v_fma_f64 v[70:71], v[4:5], s[12:13], v[6:7]
	v_fma_f64 v[88:89], v[4:5], s[4:5], v[88:89]
	;; [unrolled: 1-line block ×3, first 2 shown]
	s_mov_b32 s1, exec_lo
	v_fma_f64 v[6:7], v[114:115], s[18:19], v[82:83]
	v_fma_f64 v[0:1], v[112:113], s[18:19], v[0:1]
	;; [unrolled: 1-line block ×3, first 2 shown]
	s_delay_alu instid0(VALU_DEP_4) | instskip(NEXT) | instid1(VALU_DEP_4)
	v_fma_f64 v[4:5], v[116:117], s[10:11], v[4:5]
	v_fma_f64 v[82:83], v[96:97], s[12:13], v[6:7]
	s_delay_alu instid0(VALU_DEP_4) | instskip(NEXT) | instid1(VALU_DEP_4)
	v_fma_f64 v[84:85], v[98:99], s[12:13], v[0:1]
	v_fma_f64 v[90:91], v[100:101], s[12:13], v[2:3]
	s_delay_alu instid0(VALU_DEP_4) | instskip(NEXT) | instid1(VALU_DEP_4)
	v_fma_f64 v[94:95], v[106:107], s[12:13], v[4:5]
	v_add_f64_e64 v[0:1], v[82:83], -v[66:67]
	s_delay_alu instid0(VALU_DEP_4) | instskip(NEXT) | instid1(VALU_DEP_4)
	v_add_f64_e64 v[4:5], v[84:85], -v[70:71]
	v_add_f64_e64 v[2:3], v[90:91], -v[86:87]
	s_delay_alu instid0(VALU_DEP_4)
	v_add_f64_e64 v[6:7], v[94:95], -v[88:89]
	v_cmpx_gt_u32_e32 54, v74
	s_cbranch_execz .LBB0_15
; %bb.14:
	v_mul_f64_e32 v[123:124], s[4:5], v[60:61]
	v_mul_f64_e32 v[121:122], s[4:5], v[56:57]
	;; [unrolled: 1-line block ×6, first 2 shown]
	v_add_f64_e32 v[50:51], v[50:51], v[54:55]
	v_add_f64_e32 v[22:23], v[30:31], v[22:23]
	v_add_f64_e32 v[48:49], v[48:49], v[52:53]
	v_add_f64_e32 v[20:21], v[28:29], v[20:21]
	v_mul_f64_e32 v[129:130], s[4:5], v[116:117]
	v_mul_f64_e32 v[131:132], s[4:5], v[118:119]
	v_mul_f64_e32 v[80:81], s[10:11], v[80:81]
	v_mul_f64_e32 v[34:35], s[10:11], v[34:35]
	v_mul_f64_e32 v[28:29], s[12:13], v[62:63]
	v_mul_f64_e32 v[30:31], s[12:13], v[68:69]
	v_mul_f64_e32 v[62:63], s[10:11], v[116:117]
	v_mul_f64_e32 v[32:33], s[12:13], v[32:33]
	v_add_f64_e32 v[64:65], v[123:124], v[64:65]
	v_add_f64_e64 v[58:59], v[58:59], -v[121:122]
	v_mul_f64_e32 v[121:122], s[4:5], v[112:113]
	v_mul_f64_e32 v[123:124], s[4:5], v[114:115]
	v_add_f64_e32 v[24:25], v[24:25], v[125:126]
	v_add_f64_e64 v[26:27], v[26:27], -v[127:128]
	v_add_f64_e32 v[46:47], v[50:51], v[46:47]
	v_add_f64_e32 v[18:19], v[22:23], v[18:19]
	;; [unrolled: 1-line block ×4, first 2 shown]
	v_add_f64_e64 v[68:69], v[110:111], -v[129:130]
	v_mul_f64_e32 v[48:49], s[12:13], v[98:99]
	v_mul_f64_e32 v[50:51], s[12:13], v[100:101]
	v_add_f64_e64 v[54:55], v[64:65], -v[56:57]
	v_add_f64_e64 v[52:53], v[58:59], -v[60:61]
	v_mul_f64_e32 v[56:57], s[10:11], v[114:115]
	v_add_f64_e32 v[22:23], v[104:105], v[121:122]
	v_mul_f64_e32 v[58:59], s[10:11], v[112:113]
	v_mul_f64_e32 v[60:61], s[10:11], v[118:119]
	;; [unrolled: 1-line block ×3, first 2 shown]
	v_add_f64_e32 v[92:93], v[131:132], v[108:109]
	v_add_f64_e64 v[20:21], v[102:103], -v[123:124]
	v_add_f64_e32 v[24:25], v[80:81], v[24:25]
	v_add_f64_e32 v[26:27], v[34:35], v[26:27]
	v_add_f64_e32 v[42:43], v[46:47], v[42:43]
	v_add_f64_e32 v[14:15], v[18:19], v[14:15]
	v_add_f64_e32 v[12:13], v[16:17], v[12:13]
	v_mul_f64_e32 v[34:35], s[12:13], v[96:97]
	v_add_f64_e32 v[28:29], v[28:29], v[54:55]
	v_add_f64_e32 v[30:31], v[30:31], v[52:53]
	v_mul_f64_e32 v[52:53], s[12:13], v[106:107]
	v_add_f64_e32 v[18:19], v[56:57], v[22:23]
	v_add_f64_e32 v[22:23], v[44:45], v[40:41]
	v_add_f64_e64 v[54:55], v[68:69], -v[60:61]
	v_add_f64_e64 v[60:61], v[92:93], -v[62:63]
	v_add_f64_e32 v[16:17], v[58:59], v[20:21]
	v_add_f64_e32 v[20:21], v[32:33], v[24:25]
	;; [unrolled: 1-line block ×10, first 2 shown]
	v_mul_f64_e32 v[32:33], s[14:15], v[28:29]
	v_mul_f64_e32 v[28:29], s[4:5], v[28:29]
	;; [unrolled: 1-line block ×4, first 2 shown]
	v_add_f64_e32 v[36:37], v[22:23], v[36:37]
	v_add_f64_e32 v[40:41], v[50:51], v[54:55]
	;; [unrolled: 1-line block ×6, first 2 shown]
	v_add_f64_e64 v[18:19], v[38:39], -v[42:43]
	v_fma_f64 v[52:53], v[26:27], s[4:5], v[32:33]
	v_fma_f64 v[54:55], v[26:27], s[14:15], -v[28:29]
	v_fma_f64 v[24:25], v[20:21], s[10:11], v[24:25]
	v_fma_f64 v[56:57], v[20:21], s[16:17], -v[30:31]
	v_add_f64_e32 v[20:21], v[36:37], v[44:45]
	v_add_f64_e64 v[16:17], v[36:37], -v[44:45]
	v_add_f64_e32 v[34:35], v[46:47], v[52:53]
	v_add_f64_e32 v[32:33], v[48:49], v[54:55]
	;; [unrolled: 1-line block ×4, first 2 shown]
	v_add_f64_e64 v[38:39], v[46:47], -v[52:53]
	v_add_f64_e64 v[36:37], v[48:49], -v[54:55]
	;; [unrolled: 1-line block ×4, first 2 shown]
	v_mul_i32_i24_e32 v40, 10, v76
	s_delay_alu instid0(VALU_DEP_1)
	v_lshl_add_u32 v40, v40, 4, 0
	ds_store_b128 v40, v[0:3] offset:96
	ds_store_b128 v40, v[4:7] offset:112
	ds_store_b128 v40, v[20:23]
	ds_store_b128 v40, v[12:15] offset:16
	ds_store_b128 v40, v[8:11] offset:32
	;; [unrolled: 1-line block ×7, first 2 shown]
.LBB0_15:
	s_wait_alu 0xfffe
	s_or_b32 exec_lo, exec_lo, s1
	v_and_b32_e32 v8, 0xff, v74
	global_wb scope:SCOPE_SE
	s_wait_dscnt 0x0
	s_barrier_signal -1
	s_barrier_wait -1
	global_inv scope:SCOPE_SE
	v_mul_lo_u16 v8, 0xcd, v8
	v_lshl_add_u32 v84, v76, 4, 0
	v_mad_i32_i24 v16, 0xffffff70, v74, v75
	s_mov_b32 s0, 0x667f3bcd
	s_mov_b32 s1, 0xbfe6a09e
	v_lshrrev_b16 v12, 11, v8
	s_mov_b32 s5, 0x3fe6a09e
	s_wait_alu 0xfffe
	s_mov_b32 s4, s0
	s_mov_b32 s10, 0xcf328d46
	;; [unrolled: 1-line block ×3, first 2 shown]
	v_mul_lo_u16 v8, v12, 10
	s_mov_b32 s17, 0x3fed906b
	s_wait_alu 0xfffe
	s_mov_b32 s16, s10
	s_mov_b32 s12, 0xa6aea964
	;; [unrolled: 1-line block ×3, first 2 shown]
	v_sub_nc_u16 v8, v74, v8
	s_mov_b32 s15, 0xbfd87de2
	s_wait_alu 0xfffe
	s_mov_b32 s14, s12
	v_and_b32_e32 v12, 0xffff, v12
	v_mul_i32_i24_e32 v77, 0xffffff70, v74
	v_and_b32_e32 v13, 0xff, v8
	s_delay_alu instid0(VALU_DEP_3) | instskip(NEXT) | instid1(VALU_DEP_2)
	v_mul_u32_u24_e32 v12, 0xa0, v12
	v_mul_u32_u24_e32 v8, 15, v13
	s_delay_alu instid0(VALU_DEP_2) | instskip(NEXT) | instid1(VALU_DEP_2)
	v_or_b32_e32 v12, v12, v13
	v_lshlrev_b32_e32 v14, 4, v8
	s_clause 0xe
	global_load_b128 v[8:11], v14, s[8:9]
	global_load_b128 v[17:20], v14, s[8:9] offset:16
	global_load_b128 v[21:24], v14, s[8:9] offset:32
	;; [unrolled: 1-line block ×14, first 2 shown]
	ds_load_b128 v[85:88], v84
	ds_load_b128 v[89:92], v16 offset:2880
	ds_load_b128 v[93:96], v16 offset:4320
	;; [unrolled: 1-line block ×14, first 2 shown]
	ds_load_b128 v[149:152], v120
	v_lshl_add_u32 v12, v12, 4, 0
	global_wb scope:SCOPE_SE
	s_wait_loadcnt_dscnt 0x0
	s_barrier_signal -1
	s_barrier_wait -1
	global_inv scope:SCOPE_SE
	v_mul_f64_e32 v[14:15], v[87:88], v[10:11]
	v_mul_f64_e32 v[10:11], v[85:86], v[10:11]
	;; [unrolled: 1-line block ×15, first 2 shown]
	v_fma_f64 v[14:15], v[85:86], v[8:9], v[14:15]
	v_fma_f64 v[8:9], v[87:88], v[8:9], -v[10:11]
	v_mul_f64_e32 v[10:11], v[121:122], v[43:44]
	v_mul_f64_e32 v[43:44], v[127:128], v[47:48]
	v_mul_f64_e32 v[47:48], v[125:126], v[47:48]
	v_mul_f64_e32 v[85:86], v[131:132], v[51:52]
	v_fma_f64 v[69:70], v[89:90], v[17:18], v[69:70]
	v_fma_f64 v[17:18], v[91:92], v[17:18], -v[19:20]
	v_mul_f64_e32 v[19:20], v[129:130], v[51:52]
	v_mul_f64_e32 v[51:52], v[135:136], v[55:56]
	v_mul_f64_e32 v[55:56], v[133:134], v[55:56]
	v_mul_f64_e32 v[87:88], v[143:144], v[59:60]
	;; [unrolled: 6-line block ×3, first 2 shown]
	v_fma_f64 v[93:94], v[97:98], v[25:26], v[153:154]
	v_fma_f64 v[25:26], v[99:100], v[25:26], -v[27:28]
	v_mul_f64_e32 v[27:28], v[137:138], v[63:64]
	v_mul_f64_e32 v[63:64], v[101:102], v[82:83]
	;; [unrolled: 1-line block ×3, first 2 shown]
	v_fma_f64 v[95:96], v[109:110], v[29:30], v[155:156]
	v_fma_f64 v[29:30], v[111:112], v[29:30], -v[31:32]
	v_fma_f64 v[31:32], v[105:106], v[33:34], v[157:158]
	v_fma_f64 v[33:34], v[107:108], v[33:34], -v[35:36]
	;; [unrolled: 2-line block ×5, first 2 shown]
	v_fma_f64 v[19:20], v[131:132], v[49:50], -v[19:20]
	v_fma_f64 v[41:42], v[133:134], v[53:54], v[51:52]
	v_fma_f64 v[51:52], v[135:136], v[53:54], -v[55:56]
	v_fma_f64 v[53:54], v[129:130], v[49:50], v[85:86]
	v_fma_f64 v[49:50], v[141:142], v[57:58], v[87:88]
	v_fma_f64 v[23:24], v[143:144], v[57:58], -v[23:24]
	v_fma_f64 v[57:58], v[137:138], v[61:62], v[59:60]
	v_fma_f64 v[47:48], v[145:146], v[65:66], v[91:92]
	v_fma_f64 v[55:56], v[147:148], v[65:66], -v[67:68]
	v_fma_f64 v[27:28], v[139:140], v[61:62], -v[27:28]
	;; [unrolled: 1-line block ×3, first 2 shown]
	v_fma_f64 v[61:62], v[101:102], v[80:81], v[82:83]
	v_add_f64_e64 v[39:40], v[149:150], -v[39:40]
	v_add_f64_e64 v[10:11], v[151:152], -v[10:11]
	;; [unrolled: 1-line block ×16, first 2 shown]
	v_fma_f64 v[97:98], v[149:150], 2.0, -v[39:40]
	v_fma_f64 v[99:100], v[151:152], 2.0, -v[10:11]
	;; [unrolled: 1-line block ×5, first 2 shown]
	v_add_f64_e64 v[65:66], v[10:11], -v[41:42]
	v_add_f64_e32 v[63:64], v[39:40], v[51:52]
	v_fma_f64 v[41:42], v[93:94], 2.0, -v[41:42]
	v_add_f64_e64 v[80:81], v[19:20], -v[49:50]
	v_fma_f64 v[25:26], v[25:26], 2.0, -v[51:52]
	v_add_f64_e32 v[67:68], v[53:54], v[23:24]
	v_fma_f64 v[51:52], v[69:70], 2.0, -v[53:54]
	v_add_f64_e64 v[85:86], v[45:46], -v[47:48]
	v_add_f64_e32 v[82:83], v[43:44], v[55:56]
	v_fma_f64 v[31:32], v[31:32], 2.0, -v[49:50]
	v_fma_f64 v[23:24], v[33:34], 2.0, -v[23:24]
	;; [unrolled: 1-line block ×3, first 2 shown]
	v_add_f64_e32 v[87:88], v[57:58], v[59:60]
	v_add_f64_e64 v[91:92], v[27:28], -v[61:62]
	v_fma_f64 v[29:30], v[29:30], 2.0, -v[55:56]
	v_fma_f64 v[47:48], v[89:90], 2.0, -v[57:58]
	;; [unrolled: 1-line block ×7, first 2 shown]
	v_add_f64_e64 v[41:42], v[97:98], -v[41:42]
	v_fma_f64 v[19:20], v[19:20], 2.0, -v[80:81]
	v_add_f64_e64 v[25:26], v[99:100], -v[25:26]
	v_fma_f64 v[49:50], v[53:54], 2.0, -v[67:68]
	v_fma_f64 v[55:56], v[67:68], s[4:5], v[63:64]
	v_fma_f64 v[45:46], v[45:46], 2.0, -v[85:86]
	v_fma_f64 v[43:44], v[43:44], 2.0, -v[82:83]
	v_add_f64_e64 v[31:32], v[51:52], -v[31:32]
	v_add_f64_e64 v[23:24], v[17:18], -v[23:24]
	;; [unrolled: 1-line block ×3, first 2 shown]
	v_fma_f64 v[53:54], v[57:58], 2.0, -v[87:88]
	v_fma_f64 v[27:28], v[27:28], 2.0, -v[91:92]
	v_add_f64_e64 v[29:30], v[8:9], -v[29:30]
	v_fma_f64 v[57:58], v[80:81], s[4:5], v[65:66]
	v_fma_f64 v[59:60], v[87:88], s[4:5], v[82:83]
	v_add_f64_e64 v[37:38], v[21:22], -v[37:38]
	v_add_f64_e64 v[35:36], v[47:48], -v[35:36]
	v_fma_f64 v[61:62], v[91:92], s[4:5], v[85:86]
	v_fma_f64 v[97:98], v[97:98], 2.0, -v[41:42]
	v_fma_f64 v[89:90], v[19:20], s[0:1], v[10:11]
	v_fma_f64 v[99:100], v[99:100], 2.0, -v[25:26]
	v_fma_f64 v[69:70], v[49:50], s[0:1], v[39:40]
	v_fma_f64 v[55:56], v[80:81], s[4:5], v[55:56]
	v_fma_f64 v[51:52], v[51:52], 2.0, -v[31:32]
	v_fma_f64 v[17:18], v[17:18], 2.0, -v[23:24]
	v_add_f64_e32 v[101:102], v[41:42], v[23:24]
	v_fma_f64 v[93:94], v[53:54], s[0:1], v[43:44]
	v_fma_f64 v[95:96], v[27:28], s[0:1], v[45:46]
	v_add_f64_e64 v[103:104], v[25:26], -v[31:32]
	v_fma_f64 v[57:58], v[67:68], s[0:1], v[57:58]
	v_fma_f64 v[59:60], v[91:92], s[4:5], v[59:60]
	v_add_f64_e32 v[23:24], v[33:34], v[37:38]
	v_add_f64_e64 v[31:32], v[29:30], -v[35:36]
	v_fma_f64 v[61:62], v[87:88], s[0:1], v[61:62]
	v_fma_f64 v[14:15], v[14:15], 2.0, -v[33:34]
	v_fma_f64 v[8:9], v[8:9], 2.0, -v[29:30]
	;; [unrolled: 1-line block ×4, first 2 shown]
	v_fma_f64 v[67:68], v[19:20], s[4:5], v[69:70]
	v_fma_f64 v[69:70], v[49:50], s[0:1], v[89:90]
	v_fma_f64 v[63:64], v[63:64], 2.0, -v[55:56]
	v_add_f64_e64 v[80:81], v[99:100], -v[17:18]
	v_fma_f64 v[87:88], v[41:42], 2.0, -v[101:102]
	v_fma_f64 v[37:38], v[27:28], s[4:5], v[93:94]
	v_fma_f64 v[47:48], v[53:54], s[0:1], v[95:96]
	v_fma_f64 v[89:90], v[25:26], 2.0, -v[103:104]
	v_add_f64_e64 v[53:54], v[97:98], -v[51:52]
	v_fma_f64 v[65:66], v[65:66], 2.0, -v[57:58]
	v_fma_f64 v[27:28], v[33:34], 2.0, -v[23:24]
	;; [unrolled: 1-line block ×5, first 2 shown]
	v_fma_f64 v[19:20], v[31:32], s[4:5], v[103:104]
	v_add_f64_e64 v[35:36], v[14:15], -v[35:36]
	v_add_f64_e64 v[21:22], v[8:9], -v[21:22]
	v_fma_f64 v[85:86], v[39:40], 2.0, -v[67:68]
	v_fma_f64 v[91:92], v[10:11], 2.0, -v[69:70]
	v_fma_f64 v[10:11], v[23:24], s[4:5], v[101:102]
	v_fma_f64 v[39:40], v[59:60], s[16:17], v[55:56]
	v_fma_f64 v[93:94], v[99:100], 2.0, -v[80:81]
	v_fma_f64 v[43:44], v[43:44], 2.0, -v[37:38]
	;; [unrolled: 1-line block ×3, first 2 shown]
	v_fma_f64 v[45:46], v[61:62], s[16:17], v[57:58]
	v_fma_f64 v[82:83], v[97:98], 2.0, -v[53:54]
	v_fma_f64 v[99:100], v[37:38], s[12:13], v[67:68]
	v_fma_f64 v[49:50], v[27:28], s[0:1], v[87:88]
	;; [unrolled: 1-line block ×3, first 2 shown]
	s_wait_alu 0xfffe
	v_fma_f64 v[95:96], v[33:34], s[14:15], v[63:64]
	v_fma_f64 v[97:98], v[29:30], s[14:15], v[65:66]
	v_fma_f64 v[105:106], v[47:48], s[12:13], v[69:70]
	v_fma_f64 v[14:15], v[14:15], 2.0, -v[35:36]
	v_fma_f64 v[107:108], v[8:9], 2.0, -v[21:22]
	v_fma_f64 v[19:20], v[23:24], s[0:1], v[19:20]
	v_add_f64_e32 v[21:22], v[53:54], v[21:22]
	v_add_f64_e64 v[23:24], v[80:81], -v[35:36]
	v_fma_f64 v[17:18], v[31:32], s[4:5], v[10:11]
	v_fma_f64 v[8:9], v[61:62], s[12:13], v[39:40]
	;; [unrolled: 1-line block ×11, first 2 shown]
	v_add_f64_e64 v[37:38], v[82:83], -v[14:15]
	v_add_f64_e64 v[39:40], v[93:94], -v[107:108]
	v_fma_f64 v[47:48], v[103:104], 2.0, -v[19:20]
	v_fma_f64 v[53:54], v[53:54], 2.0, -v[21:22]
	v_cmp_gt_u32_e64 s0, 30, v74
	v_fma_f64 v[45:46], v[101:102], 2.0, -v[17:18]
	v_fma_f64 v[49:50], v[55:56], 2.0, -v[8:9]
	;; [unrolled: 1-line block ×3, first 2 shown]
	v_fma_f64 v[41:42], v[41:42], s[12:13], v[109:110]
	v_fma_f64 v[43:44], v[43:44], s[14:15], v[111:112]
	v_fma_f64 v[51:52], v[57:58], 2.0, -v[10:11]
	v_fma_f64 v[57:58], v[87:88], 2.0, -v[25:26]
	;; [unrolled: 1-line block ×11, first 2 shown]
	ds_store_b128 v12, v[17:20] offset:2240
	ds_store_b128 v12, v[8:11] offset:2400
	;; [unrolled: 1-line block ×14, first 2 shown]
	ds_store_b128 v12, v[80:83]
	ds_store_b128 v12, v[85:88] offset:160
	global_wb scope:SCOPE_SE
	s_wait_dscnt 0x0
	s_barrier_signal -1
	s_barrier_wait -1
	global_inv scope:SCOPE_SE
	ds_load_b128 v[20:23], v120
	ds_load_b128 v[68:71], v120 offset:7680
	ds_load_b128 v[64:67], v120 offset:15360
	;; [unrolled: 1-line block ×12, first 2 shown]
	ds_load_b128 v[28:31], v84
	ds_load_b128 v[48:51], v120 offset:21120
	v_add_nc_u32_e32 v85, v75, v77
	s_and_saveexec_b32 s1, s0
	s_cbranch_execz .LBB0_17
; %bb.16:
	ds_load_b128 v[8:11], v85 offset:7200
	ds_load_b128 v[0:3], v120 offset:14880
	;; [unrolled: 1-line block ×3, first 2 shown]
.LBB0_17:
	s_wait_alu 0xfffe
	s_or_b32 exec_lo, exec_lo, s1
	v_dual_mov_b32 v82, 0 :: v_dual_lshlrev_b32 v81, 1, v74
	v_add_nc_u32_e32 v86, 0x10e, v74
	v_add_nc_u32_e32 v83, 0xffffffba, v74
	;; [unrolled: 1-line block ×3, first 2 shown]
	s_mov_b32 s4, 0xe8584caa
	v_lshlrev_b64_e32 v[87:88], 4, v[81:82]
	v_add_nc_u32_e32 v81, 40, v81
	s_mov_b32 s5, 0xbfebb67a
	v_and_b32_e32 v102, 0xffff, v77
	s_mov_b32 s11, 0x3febb67a
	s_wait_alu 0xfffe
	s_mov_b32 s10, s4
	v_lshlrev_b64_e32 v[89:90], 4, v[81:82]
	v_add_co_u32 v80, s1, s8, v87
	s_wait_alu 0xf1ff
	v_add_co_ci_u32_e64 v81, s1, s9, v88, s1
	s_delay_alu instid0(VALU_DEP_3)
	v_add_co_u32 v99, s1, s8, v89
	s_wait_alu 0xf1ff
	v_add_co_ci_u32_e64 v100, s1, s9, v90, s1
	v_cmp_gt_u32_e64 s1, 0x46, v74
	s_clause 0x2
	global_load_b128 v[87:90], v[80:81], off offset:2400
	global_load_b128 v[91:94], v[80:81], off offset:2416
	;; [unrolled: 1-line block ×3, first 2 shown]
	s_wait_alu 0xf1ff
	v_cndmask_b32_e64 v151, v83, v76, s1
	v_mov_b32_e32 v83, v82
	v_and_b32_e32 v75, 0xffff, v86
	s_delay_alu instid0(VALU_DEP_3) | instskip(NEXT) | instid1(VALU_DEP_2)
	v_lshlrev_b32_e32 v82, 1, v151
	v_mul_u32_u24_e32 v101, 0xcccd, v75
	v_add_nc_u32_e32 v75, 0x1c2, v74
	s_delay_alu instid0(VALU_DEP_3) | instskip(NEXT) | instid1(VALU_DEP_3)
	v_lshlrev_b64_e32 v[82:83], 4, v[82:83]
	v_lshrrev_b32_e32 v119, 23, v101
	v_mul_u32_u24_e32 v101, 0xcccd, v102
	s_delay_alu instid0(VALU_DEP_4) | instskip(NEXT) | instid1(VALU_DEP_4)
	v_and_b32_e32 v102, 0xffff, v75
	v_add_co_u32 v82, s1, s8, v82
	s_delay_alu instid0(VALU_DEP_4) | instskip(NEXT) | instid1(VALU_DEP_3)
	v_mul_lo_u16 v103, 0xa0, v119
	v_mul_u32_u24_e32 v102, 0xcccd, v102
	v_lshrrev_b32_e32 v101, 23, v101
	s_wait_alu 0xf1ff
	v_add_co_ci_u32_e64 v83, s1, s9, v83, s1
	v_sub_nc_u16 v103, v86, v103
	v_lshrrev_b32_e32 v102, 23, v102
	v_mul_lo_u16 v101, 0xa0, v101
	v_cmp_lt_u32_e64 s1, 0x45, v74
	s_delay_alu instid0(VALU_DEP_4) | instskip(NEXT) | instid1(VALU_DEP_4)
	v_and_b32_e32 v152, 0xffff, v103
	v_mul_lo_u16 v107, 0xa0, v102
	s_delay_alu instid0(VALU_DEP_4)
	v_sub_nc_u16 v104, v77, v101
	global_load_b128 v[99:102], v[99:100], off offset:2416
	v_lshlrev_b32_e32 v115, 5, v152
	v_sub_nc_u16 v116, v75, v107
	v_and_b32_e32 v153, 0xffff, v104
	s_clause 0x2
	global_load_b128 v[103:106], v[82:83], off offset:2400
	global_load_b128 v[107:110], v[82:83], off offset:2416
	global_load_b128 v[111:114], v115, s[8:9] offset:2400
	v_and_b32_e32 v82, 0xffff, v116
	v_lshlrev_b32_e32 v83, 5, v153
	s_clause 0x1
	global_load_b128 v[115:118], v115, s[8:9] offset:2416
	global_load_b128 v[121:124], v83, s[8:9] offset:2400
	v_lshlrev_b32_e32 v133, 5, v82
	s_clause 0x2
	global_load_b128 v[125:128], v83, s[8:9] offset:2416
	global_load_b128 v[129:132], v133, s[8:9] offset:2400
	;; [unrolled: 1-line block ×3, first 2 shown]
	s_wait_alu 0xf1ff
	v_cndmask_b32_e64 v83, 0, 0x1e00, s1
	global_wb scope:SCOPE_SE
	s_wait_loadcnt_dscnt 0x0
	s_barrier_signal -1
	s_barrier_wait -1
	global_inv scope:SCOPE_SE
	v_mul_f64_e32 v[137:138], v[70:71], v[89:90]
	v_mul_f64_e32 v[139:140], v[66:67], v[93:94]
	;; [unrolled: 1-line block ×8, first 2 shown]
	v_fma_f64 v[68:69], v[68:69], v[87:88], v[137:138]
	v_fma_f64 v[64:65], v[64:65], v[91:92], v[139:140]
	v_fma_f64 v[66:67], v[66:67], v[91:92], -v[93:94]
	v_fma_f64 v[60:61], v[60:61], v[95:96], v[141:142]
	v_fma_f64 v[62:63], v[62:63], v[95:96], -v[97:98]
	v_mul_f64_e32 v[145:146], v[38:39], v[105:106]
	v_mul_f64_e32 v[105:106], v[36:37], v[105:106]
	;; [unrolled: 1-line block ×6, first 2 shown]
	v_fma_f64 v[70:71], v[70:71], v[87:88], -v[89:90]
	v_mul_f64_e32 v[87:88], v[42:43], v[117:118]
	v_mul_f64_e32 v[91:92], v[50:51], v[127:128]
	;; [unrolled: 1-line block ×10, first 2 shown]
	v_fma_f64 v[56:57], v[56:57], v[99:100], v[143:144]
	v_fma_f64 v[58:59], v[58:59], v[99:100], -v[101:102]
	v_fma_f64 v[36:37], v[36:37], v[103:104], v[145:146]
	v_fma_f64 v[38:39], v[38:39], v[103:104], -v[105:106]
	;; [unrolled: 2-line block ×4, first 2 shown]
	v_add_f64_e32 v[111:112], v[20:21], v[68:69]
	v_fma_f64 v[40:41], v[40:41], v[115:116], v[87:88]
	v_fma_f64 v[48:49], v[48:49], v[125:126], v[91:92]
	v_fma_f64 v[50:51], v[50:51], v[125:126], -v[93:94]
	v_fma_f64 v[0:1], v[0:1], v[129:130], v[127:128]
	v_fma_f64 v[2:3], v[2:3], v[129:130], -v[131:132]
	;; [unrolled: 2-line block ×3, first 2 shown]
	v_fma_f64 v[42:43], v[42:43], v[115:116], -v[89:90]
	v_fma_f64 v[44:45], v[44:45], v[121:122], v[117:118]
	v_fma_f64 v[46:47], v[46:47], v[121:122], -v[123:124]
	v_add_f64_e32 v[87:88], v[68:69], v[64:65]
	v_add_f64_e32 v[89:90], v[70:71], v[66:67]
	v_add_f64_e64 v[113:114], v[70:71], -v[66:67]
	v_add_f64_e32 v[70:71], v[22:23], v[70:71]
	v_add_f64_e64 v[68:69], v[68:69], -v[64:65]
	v_add_f64_e32 v[115:116], v[24:25], v[60:61]
	v_add_f64_e32 v[117:118], v[26:27], v[62:63]
	v_add_f64_e32 v[91:92], v[60:61], v[56:57]
	v_add_f64_e32 v[93:94], v[62:63], v[58:59]
	v_add_f64_e64 v[62:63], v[62:63], -v[58:59]
	v_add_f64_e64 v[60:61], v[60:61], -v[56:57]
	v_add_f64_e32 v[121:122], v[28:29], v[36:37]
	v_add_f64_e32 v[123:124], v[30:31], v[38:39]
	;; [unrolled: 1-line block ×4, first 2 shown]
	v_add_f64_e64 v[137:138], v[38:39], -v[34:35]
	v_add_f64_e32 v[127:128], v[14:15], v[54:55]
	v_add_f64_e64 v[139:140], v[36:37], -v[32:33]
	v_add_f64_e32 v[99:100], v[52:53], v[40:41]
	v_add_f64_e32 v[125:126], v[12:13], v[52:53]
	;; [unrolled: 1-line block ×9, first 2 shown]
	v_add_f64_e64 v[147:148], v[2:3], -v[6:7]
	v_add_f64_e64 v[149:150], v[0:1], -v[4:5]
	v_fma_f64 v[87:88], v[87:88], -0.5, v[20:21]
	v_fma_f64 v[89:90], v[89:90], -0.5, v[22:23]
	v_add_f64_e32 v[129:130], v[16:17], v[44:45]
	v_add_f64_e32 v[131:132], v[18:19], v[46:47]
	v_add_f64_e64 v[141:142], v[54:55], -v[42:43]
	v_add_f64_e64 v[143:144], v[46:47], -v[50:51]
	v_add_f64_e64 v[145:146], v[44:45], -v[48:49]
	v_fma_f64 v[91:92], v[91:92], -0.5, v[24:25]
	v_fma_f64 v[93:94], v[93:94], -0.5, v[26:27]
	v_add_f64_e32 v[20:21], v[121:122], v[32:33]
	v_add_f64_e32 v[22:23], v[123:124], v[34:35]
	v_fma_f64 v[95:96], v[95:96], -0.5, v[28:29]
	v_fma_f64 v[54:55], v[97:98], -0.5, v[30:31]
	v_add_f64_e64 v[97:98], v[52:53], -v[40:41]
	v_add_f64_e32 v[26:27], v[127:128], v[42:43]
	v_fma_f64 v[99:100], v[99:100], -0.5, v[12:13]
	v_add_f64_e32 v[12:13], v[111:112], v[64:65]
	v_add_f64_e32 v[24:25], v[125:126], v[40:41]
	;; [unrolled: 1-line block ×4, first 2 shown]
	v_fma_f64 v[8:9], v[107:108], -0.5, v[8:9]
	v_fma_f64 v[10:11], v[109:110], -0.5, v[10:11]
	v_fma_f64 v[101:102], v[101:102], -0.5, v[14:15]
	v_fma_f64 v[103:104], v[103:104], -0.5, v[16:17]
	v_fma_f64 v[105:106], v[105:106], -0.5, v[18:19]
	v_add_f64_e32 v[14:15], v[70:71], v[66:67]
	v_add_f64_e32 v[16:17], v[115:116], v[56:57]
	v_fma_f64 v[32:33], v[113:114], s[4:5], v[87:88]
	s_wait_alu 0xfffe
	v_fma_f64 v[34:35], v[68:69], s[10:11], v[89:90]
	v_fma_f64 v[36:37], v[113:114], s[10:11], v[87:88]
	;; [unrolled: 1-line block ×3, first 2 shown]
	v_add_f64_e32 v[28:29], v[129:130], v[48:49]
	v_add_f64_e32 v[30:31], v[131:132], v[50:51]
	;; [unrolled: 1-line block ×3, first 2 shown]
	v_lshlrev_b32_e32 v87, 4, v151
	v_lshlrev_b32_e32 v88, 4, v152
	v_lshl_add_u32 v89, v153, 4, 0
	v_fma_f64 v[40:41], v[62:63], s[4:5], v[91:92]
	v_fma_f64 v[42:43], v[60:61], s[10:11], v[93:94]
	;; [unrolled: 1-line block ×4, first 2 shown]
	v_add3_u32 v83, 0, v83, v87
	v_mul_u32_u24_e32 v87, 0x1e00, v119
	v_fma_f64 v[48:49], v[137:138], s[4:5], v[95:96]
	v_fma_f64 v[50:51], v[139:140], s[10:11], v[54:55]
	;; [unrolled: 1-line block ×4, first 2 shown]
	v_add3_u32 v87, 0, v87, v88
	v_fma_f64 v[56:57], v[141:142], s[4:5], v[99:100]
	v_fma_f64 v[60:61], v[141:142], s[10:11], v[99:100]
	;; [unrolled: 1-line block ×12, first 2 shown]
	ds_store_b128 v120, v[12:15]
	ds_store_b128 v120, v[32:35] offset:2560
	ds_store_b128 v120, v[36:39] offset:5120
	ds_store_b128 v83, v[20:23]
	ds_store_b128 v83, v[48:51] offset:2560
	ds_store_b128 v83, v[52:55] offset:5120
	;; [unrolled: 1-line block ×5, first 2 shown]
	ds_store_b128 v87, v[24:27]
	ds_store_b128 v87, v[56:59] offset:2560
	ds_store_b128 v87, v[60:63] offset:5120
	;; [unrolled: 1-line block ×5, first 2 shown]
	s_and_saveexec_b32 s1, s0
	s_cbranch_execz .LBB0_19
; %bb.18:
	v_lshl_add_u32 v12, v82, 4, 0
	ds_store_b128 v12, v[0:3] offset:15360
	ds_store_b128 v12, v[4:7] offset:17920
	;; [unrolled: 1-line block ×3, first 2 shown]
.LBB0_19:
	s_wait_alu 0xfffe
	s_or_b32 exec_lo, exec_lo, s1
	global_wb scope:SCOPE_SE
	s_wait_dscnt 0x0
	s_barrier_signal -1
	s_barrier_wait -1
	global_inv scope:SCOPE_SE
	ds_load_b128 v[20:23], v120
	ds_load_b128 v[40:43], v120 offset:7680
	ds_load_b128 v[44:47], v120 offset:15360
	;; [unrolled: 1-line block ×12, first 2 shown]
	ds_load_b128 v[28:31], v84
	ds_load_b128 v[60:63], v120 offset:21120
	s_and_saveexec_b32 s1, s0
	s_cbranch_execz .LBB0_21
; %bb.20:
	ds_load_b128 v[0:3], v85 offset:7200
	ds_load_b128 v[4:7], v120 offset:14880
	;; [unrolled: 1-line block ×3, first 2 shown]
.LBB0_21:
	s_wait_alu 0xfffe
	s_or_b32 exec_lo, exec_lo, s1
	v_dual_mov_b32 v83, 0 :: v_dual_lshlrev_b32 v82, 1, v76
	s_clause 0x1
	global_load_b128 v[87:90], v[80:81], off offset:7520
	global_load_b128 v[91:94], v[80:81], off offset:7536
	s_mov_b32 s10, s4
	v_lshlrev_b64_e32 v[95:96], 4, v[82:83]
	v_lshl_add_u32 v82, v74, 1, 0x168
	s_delay_alu instid0(VALU_DEP_1) | instskip(SKIP_1) | instid1(VALU_DEP_4)
	v_lshlrev_b64_e32 v[80:81], 4, v[82:83]
	v_lshlrev_b32_e32 v82, 1, v86
	v_add_co_u32 v99, s1, s8, v95
	s_wait_alu 0xf1ff
	v_add_co_ci_u32_e64 v100, s1, s9, v96, s1
	s_delay_alu instid0(VALU_DEP_3) | instskip(SKIP_4) | instid1(VALU_DEP_3)
	v_lshlrev_b64_e32 v[95:96], 4, v[82:83]
	v_lshlrev_b32_e32 v82, 1, v77
	v_add_co_u32 v80, s1, s8, v80
	s_wait_alu 0xf1ff
	v_add_co_ci_u32_e64 v81, s1, s9, v81, s1
	v_lshlrev_b64_e32 v[111:112], 4, v[82:83]
	v_add_co_u32 v115, s1, s8, v95
	s_wait_alu 0xf1ff
	v_add_co_ci_u32_e64 v116, s1, s9, v96, s1
	s_clause 0x3
	global_load_b128 v[95:98], v[99:100], off offset:7520
	global_load_b128 v[99:102], v[99:100], off offset:7536
	;; [unrolled: 1-line block ×4, first 2 shown]
	v_add_co_u32 v80, s1, s8, v111
	s_wait_alu 0xf1ff
	v_add_co_ci_u32_e64 v81, s1, s9, v112, s1
	s_clause 0x3
	global_load_b128 v[111:114], v[115:116], off offset:7520
	global_load_b128 v[115:118], v[115:116], off offset:7536
	;; [unrolled: 1-line block ×4, first 2 shown]
	global_wb scope:SCOPE_SE
	s_wait_loadcnt_dscnt 0x0
	s_barrier_signal -1
	s_barrier_wait -1
	global_inv scope:SCOPE_SE
	v_mul_f64_e32 v[80:81], v[42:43], v[89:90]
	v_mul_f64_e32 v[129:130], v[46:47], v[93:94]
	;; [unrolled: 1-line block ×20, first 2 shown]
	v_fma_f64 v[40:41], v[40:41], v[87:88], v[80:81]
	v_fma_f64 v[44:45], v[44:45], v[91:92], v[129:130]
	v_fma_f64 v[42:43], v[42:43], v[87:88], -v[89:90]
	v_fma_f64 v[46:47], v[46:47], v[91:92], -v[93:94]
	v_fma_f64 v[56:57], v[56:57], v[95:96], v[131:132]
	v_fma_f64 v[32:33], v[32:33], v[99:100], v[133:134]
	v_fma_f64 v[58:59], v[58:59], v[95:96], -v[97:98]
	v_fma_f64 v[34:35], v[34:35], v[99:100], -v[101:102]
	;; [unrolled: 4-line block ×5, first 2 shown]
	v_add_f64_e32 v[104:105], v[20:21], v[40:41]
	v_add_f64_e32 v[80:81], v[40:41], v[44:45]
	v_add_f64_e64 v[40:41], v[40:41], -v[44:45]
	v_add_f64_e32 v[86:87], v[42:43], v[46:47]
	v_add_f64_e64 v[106:107], v[42:43], -v[46:47]
	v_add_f64_e32 v[42:43], v[22:23], v[42:43]
	v_add_f64_e32 v[108:109], v[28:29], v[56:57]
	;; [unrolled: 1-line block ×5, first 2 shown]
	v_add_f64_e64 v[58:59], v[58:59], -v[34:35]
	v_add_f64_e32 v[92:93], v[36:37], v[64:65]
	v_add_f64_e64 v[56:57], v[56:57], -v[32:33]
	v_add_f64_e32 v[94:95], v[38:39], v[66:67]
	v_add_f64_e32 v[112:113], v[24:25], v[36:37]
	;; [unrolled: 1-line block ×9, first 2 shown]
	v_add_f64_e64 v[125:126], v[38:39], -v[66:67]
	v_fma_f64 v[80:81], v[80:81], -0.5, v[20:21]
	v_add_f64_e64 v[127:128], v[36:37], -v[64:65]
	v_fma_f64 v[86:87], v[86:87], -0.5, v[22:23]
	v_add_f64_e32 v[121:122], v[12:13], v[52:53]
	v_add_f64_e32 v[123:124], v[14:15], v[54:55]
	v_add_f64_e64 v[70:71], v[70:71], -v[50:51]
	v_add_f64_e64 v[68:69], v[68:69], -v[48:49]
	;; [unrolled: 1-line block ×4, first 2 shown]
	v_fma_f64 v[88:89], v[88:89], -0.5, v[28:29]
	v_fma_f64 v[90:91], v[90:91], -0.5, v[30:31]
	;; [unrolled: 1-line block ×4, first 2 shown]
	v_add_f64_e32 v[20:21], v[112:113], v[64:65]
	v_fma_f64 v[96:97], v[96:97], -0.5, v[16:17]
	v_add_f64_e32 v[16:17], v[108:109], v[32:33]
	v_fma_f64 v[98:99], v[98:99], -0.5, v[18:19]
	;; [unrolled: 2-line block ×4, first 2 shown]
	v_add_f64_e32 v[14:15], v[42:43], v[46:47]
	v_fma_f64 v[32:33], v[106:107], s[4:5], v[80:81]
	s_wait_alu 0xfffe
	v_fma_f64 v[36:37], v[106:107], s[10:11], v[80:81]
	v_fma_f64 v[34:35], v[40:41], s[10:11], v[86:87]
	;; [unrolled: 1-line block ×3, first 2 shown]
	v_add_f64_e32 v[22:23], v[114:115], v[66:67]
	v_add_f64_e32 v[24:25], v[116:117], v[48:49]
	;; [unrolled: 1-line block ×5, first 2 shown]
	v_fma_f64 v[40:41], v[58:59], s[4:5], v[88:89]
	v_fma_f64 v[44:45], v[58:59], s[10:11], v[88:89]
	;; [unrolled: 1-line block ×16, first 2 shown]
	ds_store_b128 v120, v[12:15]
	ds_store_b128 v120, v[32:35] offset:7680
	ds_store_b128 v120, v[36:39] offset:15360
	ds_store_b128 v84, v[16:19]
	ds_store_b128 v84, v[40:43] offset:7680
	ds_store_b128 v84, v[44:47] offset:15360
	;; [unrolled: 1-line block ×11, first 2 shown]
	s_and_saveexec_b32 s1, s0
	s_cbranch_execz .LBB0_23
; %bb.22:
	v_subrev_nc_u32_e32 v12, 30, v74
	s_delay_alu instid0(VALU_DEP_1) | instskip(NEXT) | instid1(VALU_DEP_1)
	v_cndmask_b32_e64 v12, v12, v75, s0
	v_lshlrev_b32_e32 v82, 1, v12
	s_delay_alu instid0(VALU_DEP_1) | instskip(NEXT) | instid1(VALU_DEP_1)
	v_lshlrev_b64_e32 v[12:13], 4, v[82:83]
	v_add_co_u32 v16, s0, s8, v12
	s_wait_alu 0xf1ff
	s_delay_alu instid0(VALU_DEP_2)
	v_add_co_ci_u32_e64 v17, s0, s9, v13, s0
	s_clause 0x1
	global_load_b128 v[12:15], v[16:17], off offset:7520
	global_load_b128 v[16:19], v[16:17], off offset:7536
	s_wait_loadcnt 0x1
	v_mul_f64_e32 v[20:21], v[4:5], v[14:15]
	s_wait_loadcnt 0x0
	v_mul_f64_e32 v[22:23], v[8:9], v[18:19]
	v_mul_f64_e32 v[14:15], v[6:7], v[14:15]
	;; [unrolled: 1-line block ×3, first 2 shown]
	s_delay_alu instid0(VALU_DEP_4) | instskip(NEXT) | instid1(VALU_DEP_4)
	v_fma_f64 v[6:7], v[6:7], v[12:13], -v[20:21]
	v_fma_f64 v[10:11], v[10:11], v[16:17], -v[22:23]
	s_delay_alu instid0(VALU_DEP_4) | instskip(NEXT) | instid1(VALU_DEP_4)
	v_fma_f64 v[4:5], v[4:5], v[12:13], v[14:15]
	v_fma_f64 v[8:9], v[8:9], v[16:17], v[18:19]
	s_delay_alu instid0(VALU_DEP_4) | instskip(NEXT) | instid1(VALU_DEP_4)
	v_add_f64_e32 v[18:19], v[2:3], v[6:7]
	v_add_f64_e32 v[12:13], v[6:7], v[10:11]
	v_add_f64_e64 v[20:21], v[6:7], -v[10:11]
	s_delay_alu instid0(VALU_DEP_4)
	v_add_f64_e32 v[14:15], v[4:5], v[8:9]
	v_add_f64_e64 v[16:17], v[4:5], -v[8:9]
	v_add_f64_e32 v[4:5], v[0:1], v[4:5]
	v_fma_f64 v[12:13], v[12:13], -0.5, v[2:3]
	v_add_f64_e32 v[2:3], v[18:19], v[10:11]
	v_fma_f64 v[14:15], v[14:15], -0.5, v[0:1]
	s_delay_alu instid0(VALU_DEP_4) | instskip(NEXT) | instid1(VALU_DEP_4)
	v_add_f64_e32 v[0:1], v[4:5], v[8:9]
	v_fma_f64 v[10:11], v[16:17], s[10:11], v[12:13]
	v_fma_f64 v[6:7], v[16:17], s[4:5], v[12:13]
	s_delay_alu instid0(VALU_DEP_4)
	v_fma_f64 v[8:9], v[20:21], s[4:5], v[14:15]
	v_fma_f64 v[4:5], v[20:21], s[10:11], v[14:15]
	ds_store_b128 v120, v[0:3] offset:7200
	ds_store_b128 v120, v[8:11] offset:14880
	;; [unrolled: 1-line block ×3, first 2 shown]
.LBB0_23:
	s_wait_alu 0xfffe
	s_or_b32 exec_lo, exec_lo, s1
	global_wb scope:SCOPE_SE
	s_wait_dscnt 0x0
	s_barrier_signal -1
	s_barrier_wait -1
	global_inv scope:SCOPE_SE
	ds_load_b128 v[4:7], v120
	v_lshlrev_b32_e32 v0, 4, v74
	s_mov_b32 s1, exec_lo
                                        ; implicit-def: $vgpr8_vgpr9
                                        ; implicit-def: $vgpr10_vgpr11
                                        ; implicit-def: $vgpr12_vgpr13
	s_delay_alu instid0(VALU_DEP_1)
	v_sub_nc_u32_e32 v14, 0, v0
                                        ; implicit-def: $vgpr0_vgpr1
	v_cmpx_ne_u32_e32 0, v74
	s_wait_alu 0xfffe
	s_xor_b32 s1, exec_lo, s1
	s_cbranch_execz .LBB0_25
; %bb.24:
	v_mov_b32_e32 v75, 0
	s_delay_alu instid0(VALU_DEP_1) | instskip(NEXT) | instid1(VALU_DEP_1)
	v_lshlrev_b64_e32 v[0:1], 4, v[74:75]
	v_add_co_u32 v0, s0, s8, v0
	s_wait_alu 0xf1ff
	s_delay_alu instid0(VALU_DEP_2)
	v_add_co_ci_u32_e64 v1, s0, s9, v1, s0
	global_load_b128 v[15:18], v[0:1], off offset:22880
	ds_load_b128 v[0:3], v14 offset:23040
	s_wait_dscnt 0x0
	v_add_f64_e64 v[8:9], v[4:5], -v[0:1]
	v_add_f64_e32 v[10:11], v[6:7], v[2:3]
	v_add_f64_e64 v[2:3], v[6:7], -v[2:3]
	v_add_f64_e32 v[0:1], v[4:5], v[0:1]
	s_delay_alu instid0(VALU_DEP_4) | instskip(NEXT) | instid1(VALU_DEP_4)
	v_mul_f64_e32 v[6:7], 0.5, v[8:9]
	v_mul_f64_e32 v[4:5], 0.5, v[10:11]
	s_delay_alu instid0(VALU_DEP_4) | instskip(SKIP_1) | instid1(VALU_DEP_3)
	v_mul_f64_e32 v[2:3], 0.5, v[2:3]
	s_wait_loadcnt 0x0
	v_mul_f64_e32 v[8:9], v[6:7], v[17:18]
	s_delay_alu instid0(VALU_DEP_2) | instskip(SKIP_1) | instid1(VALU_DEP_3)
	v_fma_f64 v[10:11], v[4:5], v[17:18], v[2:3]
	v_fma_f64 v[2:3], v[4:5], v[17:18], -v[2:3]
	v_fma_f64 v[12:13], v[0:1], 0.5, v[8:9]
	v_fma_f64 v[0:1], v[0:1], 0.5, -v[8:9]
	s_delay_alu instid0(VALU_DEP_4) | instskip(NEXT) | instid1(VALU_DEP_4)
	v_fma_f64 v[10:11], -v[15:16], v[6:7], v[10:11]
	v_fma_f64 v[2:3], -v[15:16], v[6:7], v[2:3]
	s_delay_alu instid0(VALU_DEP_4) | instskip(NEXT) | instid1(VALU_DEP_4)
	v_fma_f64 v[8:9], v[4:5], v[15:16], v[12:13]
	v_fma_f64 v[0:1], -v[4:5], v[15:16], v[0:1]
	v_dual_mov_b32 v12, v74 :: v_dual_mov_b32 v13, v75
                                        ; implicit-def: $vgpr4_vgpr5
.LBB0_25:
	s_wait_alu 0xfffe
	s_and_not1_saveexec_b32 s0, s1
	s_cbranch_execz .LBB0_27
; %bb.26:
	s_wait_dscnt 0x0
	v_add_f64_e32 v[8:9], v[4:5], v[6:7]
	v_add_f64_e64 v[0:1], v[4:5], -v[6:7]
	v_mov_b32_e32 v6, 0
	v_mov_b32_e32 v10, 0
	v_dual_mov_b32 v11, 0 :: v_dual_mov_b32 v12, 0
	s_delay_alu instid0(VALU_DEP_2)
	v_mov_b32_e32 v2, v10
	ds_load_b64 v[4:5], v6 offset:11528
	v_mov_b32_e32 v13, 0
	v_mov_b32_e32 v3, v11
	s_wait_dscnt 0x0
	v_xor_b32_e32 v5, 0x80000000, v5
	ds_store_b64 v6, v[4:5] offset:11528
.LBB0_27:
	s_wait_alu 0xfffe
	s_or_b32 exec_lo, exec_lo, s0
	v_mov_b32_e32 v77, 0
	v_lshlrev_b64_e32 v[12:13], 4, v[12:13]
	s_wait_dscnt 0x0
	s_delay_alu instid0(VALU_DEP_2) | instskip(NEXT) | instid1(VALU_DEP_1)
	v_lshlrev_b64_e32 v[4:5], 4, v[76:77]
	v_add_co_u32 v4, s0, s8, v4
	s_wait_alu 0xf1ff
	s_delay_alu instid0(VALU_DEP_2)
	v_add_co_ci_u32_e64 v5, s0, s9, v5, s0
	s_add_nc_u64 s[0:1], s[8:9], 0x5960
	s_wait_alu 0xfffe
	v_add_co_u32 v12, s0, s0, v12
	global_load_b128 v[4:7], v[4:5], off offset:22880
	s_wait_alu 0xf1ff
	v_add_co_ci_u32_e64 v13, s0, s1, v13, s0
	global_load_b128 v[15:18], v[12:13], off offset:2880
	ds_store_2addr_b64 v120, v[8:9], v[10:11] offset1:1
	ds_store_b128 v14, v[0:3] offset:23040
	ds_load_b128 v[0:3], v84
	ds_load_b128 v[8:11], v14 offset:21600
	s_wait_dscnt 0x0
	v_add_f64_e64 v[19:20], v[0:1], -v[8:9]
	v_add_f64_e32 v[21:22], v[2:3], v[10:11]
	v_add_f64_e64 v[2:3], v[2:3], -v[10:11]
	v_add_f64_e32 v[0:1], v[0:1], v[8:9]
	s_delay_alu instid0(VALU_DEP_4) | instskip(NEXT) | instid1(VALU_DEP_4)
	v_mul_f64_e32 v[10:11], 0.5, v[19:20]
	v_mul_f64_e32 v[19:20], 0.5, v[21:22]
	s_delay_alu instid0(VALU_DEP_4) | instskip(SKIP_1) | instid1(VALU_DEP_3)
	v_mul_f64_e32 v[2:3], 0.5, v[2:3]
	s_wait_loadcnt 0x1
	v_mul_f64_e32 v[8:9], v[10:11], v[6:7]
	s_delay_alu instid0(VALU_DEP_2) | instskip(SKIP_1) | instid1(VALU_DEP_3)
	v_fma_f64 v[21:22], v[19:20], v[6:7], v[2:3]
	v_fma_f64 v[2:3], v[19:20], v[6:7], -v[2:3]
	v_fma_f64 v[6:7], v[0:1], 0.5, v[8:9]
	v_fma_f64 v[0:1], v[0:1], 0.5, -v[8:9]
	s_delay_alu instid0(VALU_DEP_4) | instskip(NEXT) | instid1(VALU_DEP_4)
	v_fma_f64 v[8:9], -v[4:5], v[10:11], v[21:22]
	v_fma_f64 v[2:3], -v[4:5], v[10:11], v[2:3]
	s_delay_alu instid0(VALU_DEP_4) | instskip(NEXT) | instid1(VALU_DEP_4)
	v_fma_f64 v[10:11], v[19:20], v[4:5], v[6:7]
	v_fma_f64 v[0:1], -v[19:20], v[4:5], v[0:1]
	global_load_b128 v[4:7], v[12:13], off offset:4320
	ds_store_2addr_b64 v84, v[10:11], v[8:9] offset1:1
	ds_store_b128 v14, v[0:3] offset:21600
	ds_load_b128 v[0:3], v85 offset:2880
	ds_load_b128 v[8:11], v14 offset:20160
	s_wait_dscnt 0x0
	v_add_f64_e64 v[19:20], v[0:1], -v[8:9]
	v_add_f64_e32 v[21:22], v[2:3], v[10:11]
	v_add_f64_e64 v[2:3], v[2:3], -v[10:11]
	v_add_f64_e32 v[0:1], v[0:1], v[8:9]
	s_delay_alu instid0(VALU_DEP_4) | instskip(NEXT) | instid1(VALU_DEP_4)
	v_mul_f64_e32 v[10:11], 0.5, v[19:20]
	v_mul_f64_e32 v[19:20], 0.5, v[21:22]
	s_delay_alu instid0(VALU_DEP_4) | instskip(SKIP_1) | instid1(VALU_DEP_3)
	v_mul_f64_e32 v[2:3], 0.5, v[2:3]
	s_wait_loadcnt 0x1
	v_mul_f64_e32 v[8:9], v[10:11], v[17:18]
	s_delay_alu instid0(VALU_DEP_2) | instskip(SKIP_1) | instid1(VALU_DEP_3)
	v_fma_f64 v[21:22], v[19:20], v[17:18], v[2:3]
	v_fma_f64 v[2:3], v[19:20], v[17:18], -v[2:3]
	v_fma_f64 v[17:18], v[0:1], 0.5, v[8:9]
	v_fma_f64 v[0:1], v[0:1], 0.5, -v[8:9]
	s_delay_alu instid0(VALU_DEP_4) | instskip(NEXT) | instid1(VALU_DEP_4)
	v_fma_f64 v[8:9], -v[15:16], v[10:11], v[21:22]
	v_fma_f64 v[10:11], -v[15:16], v[10:11], v[2:3]
	s_delay_alu instid0(VALU_DEP_4) | instskip(NEXT) | instid1(VALU_DEP_4)
	v_fma_f64 v[17:18], v[19:20], v[15:16], v[17:18]
	v_fma_f64 v[15:16], -v[19:20], v[15:16], v[0:1]
	global_load_b128 v[0:3], v[12:13], off offset:5760
	ds_store_b64 v85, v[8:9] offset:2888
	ds_store_b64 v14, v[10:11] offset:20168
	ds_store_b64 v85, v[17:18] offset:2880
	ds_store_b64 v14, v[15:16] offset:20160
	ds_load_b128 v[8:11], v85 offset:4320
	ds_load_b128 v[15:18], v14 offset:18720
	s_wait_dscnt 0x0
	v_add_f64_e64 v[19:20], v[8:9], -v[15:16]
	v_add_f64_e32 v[21:22], v[10:11], v[17:18]
	v_add_f64_e64 v[10:11], v[10:11], -v[17:18]
	v_add_f64_e32 v[8:9], v[8:9], v[15:16]
	s_delay_alu instid0(VALU_DEP_4) | instskip(NEXT) | instid1(VALU_DEP_4)
	v_mul_f64_e32 v[17:18], 0.5, v[19:20]
	v_mul_f64_e32 v[19:20], 0.5, v[21:22]
	s_delay_alu instid0(VALU_DEP_4) | instskip(SKIP_1) | instid1(VALU_DEP_3)
	v_mul_f64_e32 v[10:11], 0.5, v[10:11]
	s_wait_loadcnt 0x1
	v_mul_f64_e32 v[15:16], v[17:18], v[6:7]
	s_delay_alu instid0(VALU_DEP_2) | instskip(SKIP_1) | instid1(VALU_DEP_3)
	v_fma_f64 v[21:22], v[19:20], v[6:7], v[10:11]
	v_fma_f64 v[6:7], v[19:20], v[6:7], -v[10:11]
	v_fma_f64 v[10:11], v[8:9], 0.5, v[15:16]
	v_fma_f64 v[8:9], v[8:9], 0.5, -v[15:16]
	s_delay_alu instid0(VALU_DEP_4) | instskip(NEXT) | instid1(VALU_DEP_4)
	v_fma_f64 v[15:16], -v[4:5], v[17:18], v[21:22]
	v_fma_f64 v[17:18], -v[4:5], v[17:18], v[6:7]
	s_delay_alu instid0(VALU_DEP_4) | instskip(NEXT) | instid1(VALU_DEP_4)
	v_fma_f64 v[10:11], v[19:20], v[4:5], v[10:11]
	v_fma_f64 v[8:9], -v[19:20], v[4:5], v[8:9]
	global_load_b128 v[4:7], v[12:13], off offset:7200
	ds_store_b64 v85, v[15:16] offset:4328
	ds_store_b64 v14, v[17:18] offset:18728
	ds_store_b64 v85, v[10:11] offset:4320
	ds_store_b64 v14, v[8:9] offset:18720
	;; [unrolled: 30-line block ×4, first 2 shown]
	ds_load_b128 v[8:11], v120 offset:8640
	ds_load_b128 v[15:18], v14 offset:14400
	s_wait_dscnt 0x0
	v_add_f64_e64 v[12:13], v[8:9], -v[15:16]
	v_add_f64_e32 v[19:20], v[10:11], v[17:18]
	v_add_f64_e64 v[10:11], v[10:11], -v[17:18]
	v_add_f64_e32 v[8:9], v[8:9], v[15:16]
	s_delay_alu instid0(VALU_DEP_4) | instskip(NEXT) | instid1(VALU_DEP_4)
	v_mul_f64_e32 v[12:13], 0.5, v[12:13]
	v_mul_f64_e32 v[17:18], 0.5, v[19:20]
	s_delay_alu instid0(VALU_DEP_4) | instskip(SKIP_1) | instid1(VALU_DEP_3)
	v_mul_f64_e32 v[10:11], 0.5, v[10:11]
	s_wait_loadcnt 0x1
	v_mul_f64_e32 v[15:16], v[12:13], v[2:3]
	s_delay_alu instid0(VALU_DEP_2) | instskip(SKIP_1) | instid1(VALU_DEP_3)
	v_fma_f64 v[19:20], v[17:18], v[2:3], v[10:11]
	v_fma_f64 v[2:3], v[17:18], v[2:3], -v[10:11]
	v_fma_f64 v[10:11], v[8:9], 0.5, v[15:16]
	v_fma_f64 v[8:9], v[8:9], 0.5, -v[15:16]
	s_delay_alu instid0(VALU_DEP_4) | instskip(NEXT) | instid1(VALU_DEP_4)
	v_fma_f64 v[15:16], -v[0:1], v[12:13], v[19:20]
	v_fma_f64 v[2:3], -v[0:1], v[12:13], v[2:3]
	s_delay_alu instid0(VALU_DEP_4) | instskip(NEXT) | instid1(VALU_DEP_4)
	v_fma_f64 v[10:11], v[17:18], v[0:1], v[10:11]
	v_fma_f64 v[0:1], -v[17:18], v[0:1], v[8:9]
	v_add_nc_u32_e32 v17, 0x2000, v120
	ds_store_2addr_b64 v17, v[10:11], v[15:16] offset0:56 offset1:57
	ds_store_b128 v14, v[0:3] offset:14400
	ds_load_b128 v[0:3], v120 offset:10080
	ds_load_b128 v[8:11], v14 offset:12960
	s_wait_dscnt 0x0
	v_add_f64_e64 v[12:13], v[0:1], -v[8:9]
	v_add_f64_e32 v[15:16], v[2:3], v[10:11]
	v_add_f64_e64 v[2:3], v[2:3], -v[10:11]
	v_add_f64_e32 v[0:1], v[0:1], v[8:9]
	s_delay_alu instid0(VALU_DEP_4) | instskip(NEXT) | instid1(VALU_DEP_4)
	v_mul_f64_e32 v[10:11], 0.5, v[12:13]
	v_mul_f64_e32 v[12:13], 0.5, v[15:16]
	s_delay_alu instid0(VALU_DEP_4) | instskip(SKIP_1) | instid1(VALU_DEP_3)
	v_mul_f64_e32 v[2:3], 0.5, v[2:3]
	s_wait_loadcnt 0x0
	v_mul_f64_e32 v[8:9], v[10:11], v[6:7]
	s_delay_alu instid0(VALU_DEP_2) | instskip(SKIP_1) | instid1(VALU_DEP_3)
	v_fma_f64 v[15:16], v[12:13], v[6:7], v[2:3]
	v_fma_f64 v[2:3], v[12:13], v[6:7], -v[2:3]
	v_fma_f64 v[6:7], v[0:1], 0.5, v[8:9]
	v_fma_f64 v[0:1], v[0:1], 0.5, -v[8:9]
	s_delay_alu instid0(VALU_DEP_4) | instskip(NEXT) | instid1(VALU_DEP_4)
	v_fma_f64 v[8:9], -v[4:5], v[10:11], v[15:16]
	v_fma_f64 v[2:3], -v[4:5], v[10:11], v[2:3]
	s_delay_alu instid0(VALU_DEP_4) | instskip(NEXT) | instid1(VALU_DEP_4)
	v_fma_f64 v[6:7], v[12:13], v[4:5], v[6:7]
	v_fma_f64 v[0:1], -v[12:13], v[4:5], v[0:1]
	ds_store_2addr_b64 v17, v[6:7], v[8:9] offset0:236 offset1:237
	ds_store_b128 v14, v[0:3] offset:12960
	global_wb scope:SCOPE_SE
	s_wait_dscnt 0x0
	s_barrier_signal -1
	s_barrier_wait -1
	global_inv scope:SCOPE_SE
	s_and_saveexec_b32 s0, vcc_lo
	s_cbranch_execz .LBB0_30
; %bb.28:
	v_mul_lo_u32 v2, s3, v78
	v_mul_lo_u32 v3, s2, v79
	v_mad_co_u64_u32 v[0:1], null, s2, v78, 0
	v_dual_mov_b32 v75, v77 :: v_dual_add_nc_u32 v76, 0x5a, v74
	v_lshlrev_b64_e32 v[10:11], 4, v[72:73]
	v_lshl_add_u32 v28, v74, 4, 0
	s_delay_alu instid0(VALU_DEP_3)
	v_lshlrev_b64_e32 v[12:13], 4, v[74:75]
	v_add3_u32 v1, v1, v3, v2
	ds_load_b128 v[2:5], v28
	ds_load_b128 v[6:9], v28 offset:1440
	v_lshlrev_b64_e32 v[18:19], 4, v[76:77]
	v_add_nc_u32_e32 v76, 0xb4, v74
	v_lshlrev_b64_e32 v[0:1], 4, v[0:1]
	s_delay_alu instid0(VALU_DEP_2) | instskip(SKIP_1) | instid1(VALU_DEP_3)
	v_lshlrev_b64_e32 v[20:21], 4, v[76:77]
	v_add_nc_u32_e32 v76, 0x10e, v74
	v_add_co_u32 v0, vcc_lo, s6, v0
	s_wait_alu 0xfffd
	s_delay_alu instid0(VALU_DEP_4) | instskip(NEXT) | instid1(VALU_DEP_3)
	v_add_co_ci_u32_e32 v1, vcc_lo, s7, v1, vcc_lo
	v_lshlrev_b64_e32 v[24:25], 4, v[76:77]
	s_delay_alu instid0(VALU_DEP_3) | instskip(SKIP_1) | instid1(VALU_DEP_3)
	v_add_co_u32 v0, vcc_lo, v0, v10
	s_wait_alu 0xfffd
	v_add_co_ci_u32_e32 v1, vcc_lo, v1, v11, vcc_lo
	v_add_nc_u32_e32 v76, 0x168, v74
	s_delay_alu instid0(VALU_DEP_3) | instskip(SKIP_1) | instid1(VALU_DEP_3)
	v_add_co_u32 v22, vcc_lo, v0, v12
	s_wait_alu 0xfffd
	v_add_co_ci_u32_e32 v23, vcc_lo, v1, v13, vcc_lo
	ds_load_b128 v[10:13], v28 offset:2880
	ds_load_b128 v[14:17], v28 offset:4320
	v_add_co_u32 v18, vcc_lo, v0, v18
	s_wait_alu 0xfffd
	v_add_co_ci_u32_e32 v19, vcc_lo, v1, v19, vcc_lo
	v_add_co_u32 v20, vcc_lo, v0, v20
	s_wait_alu 0xfffd
	v_add_co_ci_u32_e32 v21, vcc_lo, v1, v21, vcc_lo
	v_add_co_u32 v24, vcc_lo, v0, v24
	v_lshlrev_b64_e32 v[26:27], 4, v[76:77]
	v_add_nc_u32_e32 v76, 0x1c2, v74
	s_wait_alu 0xfffd
	v_add_co_ci_u32_e32 v25, vcc_lo, v1, v25, vcc_lo
	s_wait_dscnt 0x3
	global_store_b128 v[22:23], v[2:5], off
	s_wait_dscnt 0x2
	global_store_b128 v[18:19], v[6:9], off
	s_wait_dscnt 0x1
	global_store_b128 v[20:21], v[10:13], off
	s_wait_dscnt 0x0
	global_store_b128 v[24:25], v[14:17], off
	v_lshlrev_b64_e32 v[18:19], 4, v[76:77]
	v_add_nc_u32_e32 v76, 0x21c, v74
	ds_load_b128 v[2:5], v28 offset:5760
	ds_load_b128 v[6:9], v28 offset:7200
	;; [unrolled: 1-line block ×4, first 2 shown]
	v_add_co_u32 v20, vcc_lo, v0, v26
	v_lshlrev_b64_e32 v[22:23], 4, v[76:77]
	v_add_nc_u32_e32 v76, 0x276, v74
	s_wait_alu 0xfffd
	v_add_co_ci_u32_e32 v21, vcc_lo, v1, v27, vcc_lo
	v_add_co_u32 v18, vcc_lo, v0, v18
	s_delay_alu instid0(VALU_DEP_3)
	v_lshlrev_b64_e32 v[24:25], 4, v[76:77]
	v_add_nc_u32_e32 v76, 0x2d0, v74
	s_wait_alu 0xfffd
	v_add_co_ci_u32_e32 v19, vcc_lo, v1, v19, vcc_lo
	v_add_co_u32 v22, vcc_lo, v0, v22
	s_wait_alu 0xfffd
	v_add_co_ci_u32_e32 v23, vcc_lo, v1, v23, vcc_lo
	v_add_co_u32 v24, vcc_lo, v0, v24
	v_lshlrev_b64_e32 v[26:27], 4, v[76:77]
	v_add_nc_u32_e32 v76, 0x32a, v74
	s_wait_alu 0xfffd
	v_add_co_ci_u32_e32 v25, vcc_lo, v1, v25, vcc_lo
	s_wait_dscnt 0x3
	global_store_b128 v[20:21], v[2:5], off
	s_wait_dscnt 0x2
	global_store_b128 v[18:19], v[6:9], off
	;; [unrolled: 2-line block ×4, first 2 shown]
	ds_load_b128 v[2:5], v28 offset:11520
	ds_load_b128 v[6:9], v28 offset:12960
	v_lshlrev_b64_e32 v[18:19], 4, v[76:77]
	v_add_nc_u32_e32 v76, 0x384, v74
	ds_load_b128 v[10:13], v28 offset:14400
	ds_load_b128 v[14:17], v28 offset:15840
	v_add_co_u32 v20, vcc_lo, v0, v26
	s_wait_alu 0xfffd
	v_add_co_ci_u32_e32 v21, vcc_lo, v1, v27, vcc_lo
	v_lshlrev_b64_e32 v[22:23], 4, v[76:77]
	v_add_nc_u32_e32 v76, 0x3de, v74
	v_add_co_u32 v18, vcc_lo, v0, v18
	s_wait_alu 0xfffd
	v_add_co_ci_u32_e32 v19, vcc_lo, v1, v19, vcc_lo
	s_delay_alu instid0(VALU_DEP_3) | instskip(SKIP_4) | instid1(VALU_DEP_3)
	v_lshlrev_b64_e32 v[24:25], 4, v[76:77]
	v_add_nc_u32_e32 v76, 0x438, v74
	v_add_co_u32 v22, vcc_lo, v0, v22
	s_wait_alu 0xfffd
	v_add_co_ci_u32_e32 v23, vcc_lo, v1, v23, vcc_lo
	v_lshlrev_b64_e32 v[26:27], 4, v[76:77]
	v_add_nc_u32_e32 v76, 0x492, v74
	v_add_co_u32 v24, vcc_lo, v0, v24
	s_wait_alu 0xfffd
	v_add_co_ci_u32_e32 v25, vcc_lo, v1, v25, vcc_lo
	s_wait_dscnt 0x3
	global_store_b128 v[20:21], v[2:5], off
	s_wait_dscnt 0x2
	global_store_b128 v[18:19], v[6:9], off
	;; [unrolled: 2-line block ×4, first 2 shown]
	v_lshlrev_b64_e32 v[20:21], 4, v[76:77]
	v_add_nc_u32_e32 v76, 0x4ec, v74
	ds_load_b128 v[2:5], v28 offset:17280
	ds_load_b128 v[6:9], v28 offset:18720
	;; [unrolled: 1-line block ×4, first 2 shown]
	v_add_co_u32 v18, vcc_lo, v0, v26
	s_wait_alu 0xfffd
	v_add_co_ci_u32_e32 v19, vcc_lo, v1, v27, vcc_lo
	v_lshlrev_b64_e32 v[22:23], 4, v[76:77]
	v_add_nc_u32_e32 v76, 0x546, v74
	v_add_co_u32 v20, vcc_lo, v0, v20
	s_wait_alu 0xfffd
	v_add_co_ci_u32_e32 v21, vcc_lo, v1, v21, vcc_lo
	s_delay_alu instid0(VALU_DEP_3) | instskip(SKIP_3) | instid1(VALU_DEP_3)
	v_lshlrev_b64_e32 v[24:25], 4, v[76:77]
	v_add_co_u32 v22, vcc_lo, v0, v22
	s_wait_alu 0xfffd
	v_add_co_ci_u32_e32 v23, vcc_lo, v1, v23, vcc_lo
	v_add_co_u32 v24, vcc_lo, v0, v24
	s_wait_alu 0xfffd
	v_add_co_ci_u32_e32 v25, vcc_lo, v1, v25, vcc_lo
	v_cmp_eq_u32_e32 vcc_lo, 0x59, v74
	s_wait_dscnt 0x3
	global_store_b128 v[18:19], v[2:5], off
	s_wait_dscnt 0x2
	global_store_b128 v[20:21], v[6:9], off
	;; [unrolled: 2-line block ×4, first 2 shown]
	s_and_b32 exec_lo, exec_lo, vcc_lo
	s_cbranch_execz .LBB0_30
; %bb.29:
	v_mov_b32_e32 v2, 0
	ds_load_b128 v[2:5], v2 offset:23040
	s_wait_dscnt 0x0
	global_store_b128 v[0:1], v[2:5], off offset:23040
.LBB0_30:
	s_nop 0
	s_sendmsg sendmsg(MSG_DEALLOC_VGPRS)
	s_endpgm
	.section	.rodata,"a",@progbits
	.p2align	6, 0x0
	.amdhsa_kernel fft_rtc_back_len1440_factors_10_16_3_3_wgs_90_tpt_90_halfLds_dp_op_CI_CI_unitstride_sbrr_R2C_dirReg
		.amdhsa_group_segment_fixed_size 0
		.amdhsa_private_segment_fixed_size 0
		.amdhsa_kernarg_size 104
		.amdhsa_user_sgpr_count 2
		.amdhsa_user_sgpr_dispatch_ptr 0
		.amdhsa_user_sgpr_queue_ptr 0
		.amdhsa_user_sgpr_kernarg_segment_ptr 1
		.amdhsa_user_sgpr_dispatch_id 0
		.amdhsa_user_sgpr_private_segment_size 0
		.amdhsa_wavefront_size32 1
		.amdhsa_uses_dynamic_stack 0
		.amdhsa_enable_private_segment 0
		.amdhsa_system_sgpr_workgroup_id_x 1
		.amdhsa_system_sgpr_workgroup_id_y 0
		.amdhsa_system_sgpr_workgroup_id_z 0
		.amdhsa_system_sgpr_workgroup_info 0
		.amdhsa_system_vgpr_workitem_id 0
		.amdhsa_next_free_vgpr 175
		.amdhsa_next_free_sgpr 39
		.amdhsa_reserve_vcc 1
		.amdhsa_float_round_mode_32 0
		.amdhsa_float_round_mode_16_64 0
		.amdhsa_float_denorm_mode_32 3
		.amdhsa_float_denorm_mode_16_64 3
		.amdhsa_fp16_overflow 0
		.amdhsa_workgroup_processor_mode 1
		.amdhsa_memory_ordered 1
		.amdhsa_forward_progress 0
		.amdhsa_round_robin_scheduling 0
		.amdhsa_exception_fp_ieee_invalid_op 0
		.amdhsa_exception_fp_denorm_src 0
		.amdhsa_exception_fp_ieee_div_zero 0
		.amdhsa_exception_fp_ieee_overflow 0
		.amdhsa_exception_fp_ieee_underflow 0
		.amdhsa_exception_fp_ieee_inexact 0
		.amdhsa_exception_int_div_zero 0
	.end_amdhsa_kernel
	.text
.Lfunc_end0:
	.size	fft_rtc_back_len1440_factors_10_16_3_3_wgs_90_tpt_90_halfLds_dp_op_CI_CI_unitstride_sbrr_R2C_dirReg, .Lfunc_end0-fft_rtc_back_len1440_factors_10_16_3_3_wgs_90_tpt_90_halfLds_dp_op_CI_CI_unitstride_sbrr_R2C_dirReg
                                        ; -- End function
	.section	.AMDGPU.csdata,"",@progbits
; Kernel info:
; codeLenInByte = 12984
; NumSgprs: 41
; NumVgprs: 175
; ScratchSize: 0
; MemoryBound: 0
; FloatMode: 240
; IeeeMode: 1
; LDSByteSize: 0 bytes/workgroup (compile time only)
; SGPRBlocks: 5
; VGPRBlocks: 21
; NumSGPRsForWavesPerEU: 41
; NumVGPRsForWavesPerEU: 175
; Occupancy: 8
; WaveLimiterHint : 1
; COMPUTE_PGM_RSRC2:SCRATCH_EN: 0
; COMPUTE_PGM_RSRC2:USER_SGPR: 2
; COMPUTE_PGM_RSRC2:TRAP_HANDLER: 0
; COMPUTE_PGM_RSRC2:TGID_X_EN: 1
; COMPUTE_PGM_RSRC2:TGID_Y_EN: 0
; COMPUTE_PGM_RSRC2:TGID_Z_EN: 0
; COMPUTE_PGM_RSRC2:TIDIG_COMP_CNT: 0
	.text
	.p2alignl 7, 3214868480
	.fill 96, 4, 3214868480
	.type	__hip_cuid_be0ec14f9f471746,@object ; @__hip_cuid_be0ec14f9f471746
	.section	.bss,"aw",@nobits
	.globl	__hip_cuid_be0ec14f9f471746
__hip_cuid_be0ec14f9f471746:
	.byte	0                               ; 0x0
	.size	__hip_cuid_be0ec14f9f471746, 1

	.ident	"AMD clang version 19.0.0git (https://github.com/RadeonOpenCompute/llvm-project roc-6.4.0 25133 c7fe45cf4b819c5991fe208aaa96edf142730f1d)"
	.section	".note.GNU-stack","",@progbits
	.addrsig
	.addrsig_sym __hip_cuid_be0ec14f9f471746
	.amdgpu_metadata
---
amdhsa.kernels:
  - .args:
      - .actual_access:  read_only
        .address_space:  global
        .offset:         0
        .size:           8
        .value_kind:     global_buffer
      - .offset:         8
        .size:           8
        .value_kind:     by_value
      - .actual_access:  read_only
        .address_space:  global
        .offset:         16
        .size:           8
        .value_kind:     global_buffer
      - .actual_access:  read_only
        .address_space:  global
        .offset:         24
        .size:           8
        .value_kind:     global_buffer
      - .actual_access:  read_only
        .address_space:  global
        .offset:         32
        .size:           8
        .value_kind:     global_buffer
      - .offset:         40
        .size:           8
        .value_kind:     by_value
      - .actual_access:  read_only
        .address_space:  global
        .offset:         48
        .size:           8
        .value_kind:     global_buffer
      - .actual_access:  read_only
        .address_space:  global
        .offset:         56
        .size:           8
        .value_kind:     global_buffer
      - .offset:         64
        .size:           4
        .value_kind:     by_value
      - .actual_access:  read_only
        .address_space:  global
        .offset:         72
        .size:           8
        .value_kind:     global_buffer
      - .actual_access:  read_only
        .address_space:  global
        .offset:         80
        .size:           8
        .value_kind:     global_buffer
      - .actual_access:  read_only
        .address_space:  global
        .offset:         88
        .size:           8
        .value_kind:     global_buffer
      - .actual_access:  write_only
        .address_space:  global
        .offset:         96
        .size:           8
        .value_kind:     global_buffer
    .group_segment_fixed_size: 0
    .kernarg_segment_align: 8
    .kernarg_segment_size: 104
    .language:       OpenCL C
    .language_version:
      - 2
      - 0
    .max_flat_workgroup_size: 90
    .name:           fft_rtc_back_len1440_factors_10_16_3_3_wgs_90_tpt_90_halfLds_dp_op_CI_CI_unitstride_sbrr_R2C_dirReg
    .private_segment_fixed_size: 0
    .sgpr_count:     41
    .sgpr_spill_count: 0
    .symbol:         fft_rtc_back_len1440_factors_10_16_3_3_wgs_90_tpt_90_halfLds_dp_op_CI_CI_unitstride_sbrr_R2C_dirReg.kd
    .uniform_work_group_size: 1
    .uses_dynamic_stack: false
    .vgpr_count:     175
    .vgpr_spill_count: 0
    .wavefront_size: 32
    .workgroup_processor_mode: 1
amdhsa.target:   amdgcn-amd-amdhsa--gfx1201
amdhsa.version:
  - 1
  - 2
...

	.end_amdgpu_metadata
